;; amdgpu-corpus repo=ROCm/rocFFT kind=compiled arch=gfx1030 opt=O3
	.text
	.amdgcn_target "amdgcn-amd-amdhsa--gfx1030"
	.amdhsa_code_object_version 6
	.protected	bluestein_single_fwd_len672_dim1_half_op_CI_CI ; -- Begin function bluestein_single_fwd_len672_dim1_half_op_CI_CI
	.globl	bluestein_single_fwd_len672_dim1_half_op_CI_CI
	.p2align	8
	.type	bluestein_single_fwd_len672_dim1_half_op_CI_CI,@function
bluestein_single_fwd_len672_dim1_half_op_CI_CI: ; @bluestein_single_fwd_len672_dim1_half_op_CI_CI
; %bb.0:
	s_load_dwordx4 s[16:19], s[4:5], 0x28
	v_mul_u32_u24_e32 v1, 0x493, v0
	v_mov_b32_e32 v9, 0
	s_mov_b32 s0, exec_lo
	v_lshrrev_b32_e32 v1, 16, v1
	v_add_nc_u32_e32 v8, s6, v1
	s_waitcnt lgkmcnt(0)
	v_cmpx_gt_u64_e64 s[16:17], v[8:9]
	s_cbranch_execz .LBB0_10
; %bb.1:
	s_clause 0x1
	s_load_dwordx4 s[0:3], s[4:5], 0x18
	s_load_dwordx4 s[12:15], s[4:5], 0x0
	v_mul_lo_u16 v1, v1, 56
	v_sub_nc_u16 v0, v0, v1
	v_and_b32_e32 v45, 0xffff, v0
	v_or_b32_e32 v39, 0x1c0, v45
	v_lshlrev_b32_e32 v36, 2, v45
	v_lshlrev_b32_e32 v51, 3, v45
	s_waitcnt lgkmcnt(0)
	s_load_dwordx4 s[8:11], s[0:1], 0x0
	v_add_nc_u32_e32 v91, 0x70, v45
	v_add_nc_u32_e32 v92, 0xa8, v45
	global_load_dword v48, v36, s[12:13]
	v_add_nc_u32_e32 v60, 0x400, v36
	v_add_nc_u32_e32 v62, 0x200, v36
	;; [unrolled: 1-line block ×3, first 2 shown]
	s_waitcnt lgkmcnt(0)
	v_mad_u64_u32 v[1:2], null, s10, v8, 0
	v_mad_u64_u32 v[3:4], null, s8, v45, 0
	s_mul_i32 s0, s9, 0x540
	s_mul_hi_u32 s1, s8, 0x540
	s_mul_i32 s6, s8, 0x540
	s_add_i32 s1, s1, s0
	s_mul_hi_u32 s10, s8, 0xfffffba0
	s_mul_i32 s7, s9, 0xfffffba0
	v_mad_u64_u32 v[5:6], null, s11, v8, v[2:3]
	s_mul_i32 s11, s8, 0xfffffba0
	s_sub_i32 s0, s10, s8
	s_add_i32 s0, s0, s7
	v_add_co_u32 v18, s7, s12, v36
	v_mad_u64_u32 v[6:7], null, s9, v45, v[4:5]
	v_mov_b32_e32 v2, v5
	v_add_co_ci_u32_e64 v19, null, s13, 0, s7
	v_lshlrev_b64 v[1:2], 2, v[1:2]
	v_mov_b32_e32 v4, v6
	v_mad_u64_u32 v[5:6], null, s8, v39, 0
	v_lshlrev_b64 v[3:4], 2, v[3:4]
	v_add_co_u32 v15, vcc_lo, s18, v1
	v_add_co_ci_u32_e32 v16, vcc_lo, s19, v2, vcc_lo
	v_mad_u64_u32 v[6:7], null, s9, v39, v[6:7]
	v_add_co_u32 v1, vcc_lo, v15, v3
	v_add_co_ci_u32_e32 v2, vcc_lo, v16, v4, vcc_lo
	v_add_co_u32 v3, vcc_lo, v1, s6
	v_add_co_ci_u32_e32 v4, vcc_lo, s1, v2, vcc_lo
	global_load_dword v7, v[1:2], off
	global_load_dword v47, v36, s[12:13] offset:1344
	global_load_dword v17, v[3:4], off
	v_add_co_u32 v9, vcc_lo, v3, s11
	v_add_co_ci_u32_e32 v10, vcc_lo, s0, v4, vcc_lo
	v_lshlrev_b64 v[3:4], 2, v[5:6]
	v_add_co_u32 v11, vcc_lo, v9, s6
	v_add_co_ci_u32_e32 v12, vcc_lo, s1, v10, vcc_lo
	global_load_dword v46, v36, s[12:13] offset:224
	v_add_co_u32 v13, vcc_lo, v11, s11
	v_add_co_ci_u32_e32 v14, vcc_lo, s0, v12, vcc_lo
	global_load_dword v9, v[9:10], off
	global_load_dword v44, v36, s[12:13] offset:1568
	global_load_dword v10, v[11:12], off
	v_add_co_u32 v3, vcc_lo, v15, v3
	v_mad_u64_u32 v[1:2], null, 0xe0, s8, v[13:14]
	v_add_co_ci_u32_e32 v4, vcc_lo, v16, v4, vcc_lo
	s_clause 0x1
	global_load_dword v42, v36, s[12:13] offset:1792
	global_load_dword v40, v36, s[12:13] offset:2016
	s_clause 0x1
	global_load_dword v11, v[13:14], off
	global_load_dword v12, v[3:4], off
	s_clause 0x2
	global_load_dword v43, v36, s[12:13] offset:448
	global_load_dword v41, v36, s[12:13] offset:672
	;; [unrolled: 1-line block ×3, first 2 shown]
	v_mad_u64_u32 v[5:6], null, 0xe0, s9, v[2:3]
	v_add_co_u32 v3, vcc_lo, 0x800, v18
	v_add_co_ci_u32_e32 v4, vcc_lo, 0, v19, vcc_lo
	v_mov_b32_e32 v2, v5
	v_add_co_u32 v5, vcc_lo, v1, s6
	v_add_co_ci_u32_e32 v6, vcc_lo, s1, v2, vcc_lo
	global_load_dword v13, v[1:2], off
	v_add_co_u32 v1, vcc_lo, v5, s11
	v_add_co_ci_u32_e32 v2, vcc_lo, s0, v6, vcc_lo
	global_load_dword v14, v[5:6], off
	;; [unrolled: 3-line block ×4, first 2 shown]
	v_add_co_u32 v5, vcc_lo, v1, s6
	v_add_co_ci_u32_e32 v6, vcc_lo, s1, v2, vcc_lo
	global_load_dword v37, v[3:4], off offset:192
	global_load_dword v2, v[1:2], off
	global_load_dword v5, v[5:6], off
	s_clause 0x1
	global_load_dword v35, v36, s[12:13] offset:1120
	global_load_dword v34, v[3:4], off offset:416
	v_add_nc_u32_e32 v1, 0x600, v36
	s_load_dwordx4 s[8:11], s[2:3], 0x0
	v_add_nc_u32_e32 v3, 0x800, v36
	s_load_dwordx2 s[2:3], s[4:5], 0x38
	v_cmp_gt_u16_e32 vcc_lo, 40, v0
	s_waitcnt vmcnt(22)
	v_lshrrev_b32_e32 v4, 16, v7
	v_mul_f16_sdwa v6, v48, v7 dst_sel:DWORD dst_unused:UNUSED_PAD src0_sel:WORD_1 src1_sel:DWORD
	s_waitcnt vmcnt(20)
	v_lshrrev_b32_e32 v19, 16, v17
	v_mul_f16_sdwa v20, v47, v17 dst_sel:DWORD dst_unused:UNUSED_PAD src0_sel:WORD_1 src1_sel:DWORD
	v_mul_f16_sdwa v18, v48, v4 dst_sel:DWORD dst_unused:UNUSED_PAD src0_sel:WORD_1 src1_sel:DWORD
	v_fma_f16 v4, v48, v4, -v6
	v_mul_f16_sdwa v6, v47, v19 dst_sel:DWORD dst_unused:UNUSED_PAD src0_sel:WORD_1 src1_sel:DWORD
	v_fma_f16 v19, v47, v19, -v20
	v_fmac_f16_e32 v18, v48, v7
	v_fmac_f16_e32 v6, v47, v17
	s_waitcnt vmcnt(18)
	v_lshrrev_b32_e32 v7, 16, v9
	v_mul_f16_sdwa v20, v46, v9 dst_sel:DWORD dst_unused:UNUSED_PAD src0_sel:WORD_1 src1_sel:DWORD
	v_pack_b32_f16 v4, v18, v4
	s_waitcnt vmcnt(16)
	v_lshrrev_b32_e32 v18, 16, v10
	v_mul_f16_sdwa v21, v44, v10 dst_sel:DWORD dst_unused:UNUSED_PAD src0_sel:WORD_1 src1_sel:DWORD
	v_mul_f16_sdwa v17, v46, v7 dst_sel:DWORD dst_unused:UNUSED_PAD src0_sel:WORD_1 src1_sel:DWORD
	v_fma_f16 v7, v46, v7, -v20
	v_pack_b32_f16 v6, v6, v19
	s_waitcnt vmcnt(13)
	v_lshrrev_b32_e32 v19, 16, v11
	s_waitcnt vmcnt(11)
	v_mul_f16_sdwa v20, v43, v11 dst_sel:DWORD dst_unused:UNUSED_PAD src0_sel:WORD_1 src1_sel:DWORD
	v_fmac_f16_e32 v17, v46, v9
	v_mul_f16_sdwa v9, v44, v18 dst_sel:DWORD dst_unused:UNUSED_PAD src0_sel:WORD_1 src1_sel:DWORD
	v_fma_f16 v18, v44, v18, -v21
	v_lshrrev_b32_e32 v21, 16, v12
	ds_write_b32 v36, v6 offset:1344
	v_pack_b32_f16 v6, v17, v7
	v_mul_f16_sdwa v7, v43, v19 dst_sel:DWORD dst_unused:UNUSED_PAD src0_sel:WORD_1 src1_sel:DWORD
	v_mul_f16_sdwa v22, v42, v12 dst_sel:DWORD dst_unused:UNUSED_PAD src0_sel:WORD_1 src1_sel:DWORD
	v_fmac_f16_e32 v9, v44, v10
	v_fma_f16 v10, v43, v19, -v20
	v_mul_f16_sdwa v17, v42, v21 dst_sel:DWORD dst_unused:UNUSED_PAD src0_sel:WORD_1 src1_sel:DWORD
	v_fmac_f16_e32 v7, v43, v11
	ds_write2_b32 v36, v4, v6 offset1:56
	v_fma_f16 v19, v42, v21, -v22
	v_pack_b32_f16 v6, v9, v18
	v_fmac_f16_e32 v17, v42, v12
	v_pack_b32_f16 v7, v7, v10
	s_waitcnt vmcnt(8)
	v_lshrrev_b32_e32 v4, 16, v13
	v_mul_f16_sdwa v9, v41, v13 dst_sel:DWORD dst_unused:UNUSED_PAD src0_sel:WORD_1 src1_sel:DWORD
	v_pack_b32_f16 v11, v17, v19
	v_mul_f16_sdwa v10, v41, v4 dst_sel:DWORD dst_unused:UNUSED_PAD src0_sel:WORD_1 src1_sel:DWORD
	s_waitcnt vmcnt(7)
	v_lshrrev_b32_e32 v12, 16, v14
	v_mul_f16_sdwa v17, v40, v14 dst_sel:DWORD dst_unused:UNUSED_PAD src0_sel:WORD_1 src1_sel:DWORD
	v_fma_f16 v4, v41, v4, -v9
	v_fmac_f16_e32 v10, v41, v13
	s_waitcnt vmcnt(6)
	v_lshrrev_b32_e32 v9, 16, v15
	v_mul_f16_sdwa v13, v40, v12 dst_sel:DWORD dst_unused:UNUSED_PAD src0_sel:WORD_1 src1_sel:DWORD
	v_fma_f16 v12, v40, v12, -v17
	v_mul_f16_sdwa v17, v38, v15 dst_sel:DWORD dst_unused:UNUSED_PAD src0_sel:WORD_1 src1_sel:DWORD
	v_pack_b32_f16 v4, v10, v4
	v_mul_f16_sdwa v10, v38, v9 dst_sel:DWORD dst_unused:UNUSED_PAD src0_sel:WORD_1 src1_sel:DWORD
	v_fmac_f16_e32 v13, v40, v14
	s_waitcnt vmcnt(5)
	v_lshrrev_b32_e32 v14, 16, v16
	v_fma_f16 v9, v38, v9, -v17
	s_waitcnt vmcnt(4)
	v_mul_f16_sdwa v17, v37, v16 dst_sel:DWORD dst_unused:UNUSED_PAD src0_sel:WORD_1 src1_sel:DWORD
	v_fmac_f16_e32 v10, v38, v15
	s_waitcnt vmcnt(3)
	v_lshrrev_b32_e32 v15, 16, v2
	s_waitcnt vmcnt(2)
	v_lshrrev_b32_e32 v19, 16, v5
	v_mul_f16_sdwa v18, v37, v14 dst_sel:DWORD dst_unused:UNUSED_PAD src0_sel:WORD_1 src1_sel:DWORD
	v_fma_f16 v14, v37, v14, -v17
	s_waitcnt vmcnt(1)
	v_mul_f16_sdwa v17, v35, v2 dst_sel:DWORD dst_unused:UNUSED_PAD src0_sel:WORD_1 src1_sel:DWORD
	v_mul_f16_sdwa v20, v35, v15 dst_sel:DWORD dst_unused:UNUSED_PAD src0_sel:WORD_1 src1_sel:DWORD
	s_waitcnt vmcnt(0)
	v_mul_f16_sdwa v21, v34, v5 dst_sel:DWORD dst_unused:UNUSED_PAD src0_sel:WORD_1 src1_sel:DWORD
	v_mul_f16_sdwa v22, v34, v19 dst_sel:DWORD dst_unused:UNUSED_PAD src0_sel:WORD_1 src1_sel:DWORD
	v_fmac_f16_e32 v18, v37, v16
	v_fma_f16 v15, v35, v15, -v17
	v_fmac_f16_e32 v20, v35, v2
	v_fma_f16 v2, v34, v19, -v21
	v_fmac_f16_e32 v22, v34, v5
	v_pack_b32_f16 v5, v13, v12
	v_pack_b32_f16 v9, v10, v9
	;; [unrolled: 1-line block ×5, first 2 shown]
	ds_write2_b32 v60, v6, v11 offset0:136 offset1:192
	ds_write2_b32 v36, v7, v4 offset0:112 offset1:168
	;; [unrolled: 1-line block ×4, first 2 shown]
	ds_write_b32 v36, v2 offset:2464
	s_waitcnt lgkmcnt(0)
	s_barrier
	buffer_gl0_inv
	ds_read2_b32 v[5:6], v36 offset1:56
	ds_read2_b32 v[9:10], v60 offset0:80 offset1:136
	ds_read2_b32 v[11:12], v36 offset0:112 offset1:168
	;; [unrolled: 1-line block ×5, first 2 shown]
	v_and_b32_e32 v22, 1, v45
	v_add_co_u32 v2, null, v45, 56
	v_lshlrev_b32_e32 v4, 1, v45
	s_waitcnt lgkmcnt(0)
	v_lshlrev_b32_e32 v24, 2, v22
	v_lshlrev_b32_e32 v50, 3, v2
	s_barrier
	v_lshlrev_b32_e32 v23, 2, v4
	buffer_gl0_inv
	v_add_nc_u32_e32 v93, 0x1c0, v4
	v_pk_add_f16 v19, v5, v9 neg_lo:[0,1] neg_hi:[0,1]
	v_pk_add_f16 v7, v6, v10 neg_lo:[0,1] neg_hi:[0,1]
	v_pk_add_f16 v10, v11, v13 neg_lo:[0,1] neg_hi:[0,1]
	v_pk_add_f16 v13, v12, v14 neg_lo:[0,1] neg_hi:[0,1]
	v_pk_add_f16 v21, v15, v17 neg_lo:[0,1] neg_hi:[0,1]
	v_pk_add_f16 v17, v16, v18 neg_lo:[0,1] neg_hi:[0,1]
	v_pk_fma_f16 v18, v5, 2.0, v19 op_sel_hi:[1,0,1] neg_lo:[0,0,1] neg_hi:[0,0,1]
	v_pk_fma_f16 v6, v6, 2.0, v7 op_sel_hi:[1,0,1] neg_lo:[0,0,1] neg_hi:[0,0,1]
	;; [unrolled: 1-line block ×6, first 2 shown]
	ds_write_b64 v51, v[18:19]
	ds_write_b64 v50, v[6:7]
	ds_write2_b64 v51, v[9:10], v[12:13] offset0:112 offset1:168
	ds_write_b64 v23, v[20:21] offset:1792
	ds_write_b64 v51, v[16:17] offset:2240
	s_waitcnt lgkmcnt(0)
	s_barrier
	buffer_gl0_inv
	global_load_dword v49, v24, s[14:15]
	v_and_or_b32 v12, 0x7c, v4, v22
	ds_read2_b32 v[10:11], v60 offset0:80 offset1:136
	ds_read2_b32 v[14:15], v3 offset0:48 offset1:104
	v_lshlrev_b32_e32 v6, 1, v2
	v_lshlrev_b32_e32 v7, 1, v91
	;; [unrolled: 1-line block ×3, first 2 shown]
	ds_read2_b32 v[12:13], v60 offset0:192 offset1:248
	v_lshlrev_b32_e32 v5, 1, v92
	v_lshlrev_b32_e32 v9, 1, v90
	ds_read2_b32 v[16:17], v36 offset1:56
	ds_read2_b32 v[18:19], v36 offset0:112 offset1:168
	ds_read2_b32 v[20:21], v62 offset0:96 offset1:152
	v_and_or_b32 v25, 0xfc, v6, v22
	v_and_or_b32 v26, 0x1fc, v7, v22
	;; [unrolled: 1-line block ×5, first 2 shown]
	v_lshlrev_b32_e32 v54, 2, v25
	v_lshlrev_b32_e32 v55, 2, v26
	v_lshlrev_b32_e32 v56, 2, v27
	v_lshlrev_b32_e32 v57, 2, v28
	v_lshlrev_b32_e32 v58, 2, v22
	s_waitcnt lgkmcnt(5)
	v_lshrrev_b32_e32 v22, 16, v10
	v_lshrrev_b32_e32 v25, 16, v11
	s_waitcnt lgkmcnt(4)
	v_lshrrev_b32_e32 v28, 16, v14
	v_lshrrev_b32_e32 v29, 16, v15
	;; [unrolled: 3-line block ×3, first 2 shown]
	v_and_b32_e32 v23, 3, v45
	s_waitcnt lgkmcnt(2)
	v_lshrrev_b32_e32 v30, 16, v16
	v_lshrrev_b32_e32 v31, 16, v17
	s_waitcnt lgkmcnt(1)
	v_lshrrev_b32_e32 v32, 16, v18
	v_lshrrev_b32_e32 v33, 16, v19
	;; [unrolled: 3-line block ×3, first 2 shown]
	v_lshlrev_b32_e32 v24, 2, v23
	s_waitcnt vmcnt(0)
	s_barrier
	buffer_gl0_inv
	v_mul_f16_sdwa v61, v22, v49 dst_sel:DWORD dst_unused:UNUSED_PAD src0_sel:DWORD src1_sel:WORD_1
	v_mul_f16_sdwa v63, v10, v49 dst_sel:DWORD dst_unused:UNUSED_PAD src0_sel:DWORD src1_sel:WORD_1
	;; [unrolled: 1-line block ×12, first 2 shown]
	v_fma_f16 v10, v10, v49, -v61
	v_fmac_f16_e32 v63, v22, v49
	v_fma_f16 v11, v11, v49, -v64
	v_fmac_f16_e32 v65, v25, v49
	;; [unrolled: 2-line block ×6, first 2 shown]
	v_sub_f16_e32 v10, v16, v10
	v_sub_f16_e32 v22, v30, v63
	;; [unrolled: 1-line block ×12, first 2 shown]
	v_fma_f16 v16, v16, 2.0, -v10
	v_fma_f16 v30, v30, 2.0, -v22
	;; [unrolled: 1-line block ×3, first 2 shown]
	v_pack_b32_f16 v10, v10, v22
	v_fma_f16 v22, v31, 2.0, -v25
	v_fma_f16 v18, v18, 2.0, -v12
	v_pack_b32_f16 v11, v11, v25
	v_fma_f16 v25, v32, 2.0, -v26
	v_fma_f16 v19, v19, 2.0, -v13
	;; [unrolled: 3-line block ×4, first 2 shown]
	v_pack_b32_f16 v14, v14, v28
	v_fma_f16 v28, v59, 2.0, -v29
	v_pack_b32_f16 v16, v16, v30
	v_pack_b32_f16 v17, v17, v22
	;; [unrolled: 1-line block ×7, first 2 shown]
	ds_write2_b32 v53, v16, v10 offset1:2
	ds_write2_b32 v54, v17, v11 offset1:2
	;; [unrolled: 1-line block ×6, first 2 shown]
	s_waitcnt lgkmcnt(0)
	s_barrier
	buffer_gl0_inv
	global_load_dword v52, v24, s[14:15] offset:8
	v_and_or_b32 v14, 0x78, v4, v23
	ds_read2_b32 v[10:11], v60 offset0:80 offset1:136
	ds_read2_b32 v[12:13], v36 offset1:56
	ds_read2_b32 v[16:17], v3 offset0:48 offset1:104
	ds_read2_b32 v[18:19], v36 offset0:112 offset1:168
	ds_read2_b32 v[20:21], v62 offset0:96 offset1:152
	v_lshlrev_b32_e32 v61, 2, v14
	ds_read2_b32 v[14:15], v60 offset0:192 offset1:248
	v_and_or_b32 v25, 0xf8, v6, v23
	v_and_or_b32 v26, 0x1f8, v7, v23
	;; [unrolled: 1-line block ×5, first 2 shown]
	v_lshlrev_b32_e32 v63, 2, v25
	v_lshlrev_b32_e32 v64, 2, v26
	;; [unrolled: 1-line block ×5, first 2 shown]
	v_and_b32_e32 v22, 7, v45
	s_waitcnt vmcnt(0) lgkmcnt(0)
	s_barrier
	v_lshrrev_b32_e32 v23, 16, v10
	v_lshrrev_b32_e32 v26, 16, v11
	;; [unrolled: 1-line block ×12, first 2 shown]
	v_lshlrev_b32_e32 v24, 2, v22
	buffer_gl0_inv
	v_mul_f16_sdwa v69, v23, v52 dst_sel:DWORD dst_unused:UNUSED_PAD src0_sel:DWORD src1_sel:WORD_1
	v_mul_f16_sdwa v70, v10, v52 dst_sel:DWORD dst_unused:UNUSED_PAD src0_sel:DWORD src1_sel:WORD_1
	;; [unrolled: 1-line block ×12, first 2 shown]
	v_fma_f16 v10, v10, v52, -v69
	v_fmac_f16_e32 v70, v23, v52
	v_fma_f16 v11, v11, v52, -v71
	v_fmac_f16_e32 v72, v26, v52
	;; [unrolled: 2-line block ×6, first 2 shown]
	v_sub_f16_e32 v10, v12, v10
	v_sub_f16_e32 v23, v25, v70
	;; [unrolled: 1-line block ×12, first 2 shown]
	v_fma_f16 v12, v12, 2.0, -v10
	v_fma_f16 v25, v25, 2.0, -v23
	v_pack_b32_f16 v10, v10, v23
	v_fma_f16 v13, v13, 2.0, -v11
	v_fma_f16 v23, v31, 2.0, -v26
	;; [unrolled: 1-line block ×3, first 2 shown]
	v_pack_b32_f16 v11, v11, v26
	v_fma_f16 v26, v32, 2.0, -v27
	v_fma_f16 v19, v19, 2.0, -v15
	v_pack_b32_f16 v14, v14, v27
	v_fma_f16 v27, v33, 2.0, -v28
	v_fma_f16 v20, v20, 2.0, -v16
	;; [unrolled: 3-line block ×3, first 2 shown]
	v_pack_b32_f16 v16, v16, v29
	v_fma_f16 v29, v68, 2.0, -v30
	v_pack_b32_f16 v12, v12, v25
	v_pack_b32_f16 v13, v13, v23
	;; [unrolled: 1-line block ×7, first 2 shown]
	ds_write2_b32 v61, v12, v10 offset1:4
	ds_write2_b32 v63, v13, v11 offset1:4
	;; [unrolled: 1-line block ×6, first 2 shown]
	s_waitcnt lgkmcnt(0)
	s_barrier
	buffer_gl0_inv
	global_load_dword v59, v24, s[14:15] offset:24
	v_and_or_b32 v10, 0x70, v4, v22
	v_and_or_b32 v27, 0xf0, v6, v22
	;; [unrolled: 1-line block ×5, first 2 shown]
	v_lshlrev_b32_e32 v71, 2, v10
	ds_read2_b32 v[10:11], v60 offset0:80 offset1:136
	ds_read2_b32 v[12:13], v36 offset1:56
	ds_read2_b32 v[14:15], v60 offset0:192 offset1:248
	ds_read2_b32 v[16:17], v36 offset0:112 offset1:168
	;; [unrolled: 1-line block ×4, first 2 shown]
	v_and_or_b32 v22, 0x2f0, v9, v22
	v_lshlrev_b32_e32 v75, 2, v28
	v_lshlrev_b32_e32 v77, 2, v30
	;; [unrolled: 1-line block ×5, first 2 shown]
	v_and_b32_e32 v23, 15, v45
	v_and_b32_e32 v25, 15, v90
	v_and_b32_e32 v26, 15, v92
	s_waitcnt vmcnt(0) lgkmcnt(0)
	s_barrier
	v_lshlrev_b32_e32 v24, 2, v23
	v_lshlrev_b32_e32 v31, 2, v25
	buffer_gl0_inv
	v_and_or_b32 v4, 0x60, v4, v23
	v_lshrrev_b32_e32 v22, 16, v10
	v_lshrrev_b32_e32 v28, 16, v11
	;; [unrolled: 1-line block ×12, first 2 shown]
	v_and_or_b32 v9, 0x2e0, v9, v25
	v_mul_f16_sdwa v79, v22, v59 dst_sel:DWORD dst_unused:UNUSED_PAD src0_sel:DWORD src1_sel:WORD_1
	v_mul_f16_sdwa v80, v10, v59 dst_sel:DWORD dst_unused:UNUSED_PAD src0_sel:DWORD src1_sel:WORD_1
	;; [unrolled: 1-line block ×12, first 2 shown]
	v_fma_f16 v10, v10, v59, -v79
	v_fmac_f16_e32 v80, v22, v59
	v_fma_f16 v11, v11, v59, -v81
	v_fmac_f16_e32 v82, v28, v59
	v_fmac_f16_e32 v83, v30, v59
	v_fma_f16 v14, v14, v59, -v84
	v_fma_f16 v15, v15, v59, -v85
	v_fmac_f16_e32 v86, v33, v59
	v_fma_f16 v18, v18, v59, -v87
	v_fmac_f16_e32 v89, v69, v59
	;; [unrolled: 2-line block ×3, first 2 shown]
	v_sub_f16_e32 v10, v12, v10
	v_sub_f16_e32 v22, v27, v80
	;; [unrolled: 1-line block ×12, first 2 shown]
	v_fma_f16 v12, v12, 2.0, -v10
	v_fma_f16 v27, v27, 2.0, -v22
	v_pack_b32_f16 v10, v10, v22
	v_fma_f16 v13, v13, 2.0, -v11
	v_fma_f16 v22, v29, 2.0, -v28
	v_pack_b32_f16 v11, v11, v28
	v_fma_f16 v28, v32, 2.0, -v30
	v_pack_b32_f16 v29, v14, v30
	v_fma_f16 v14, v16, 2.0, -v14
	v_fma_f16 v16, v17, 2.0, -v15
	v_fma_f16 v17, v68, 2.0, -v33
	v_fma_f16 v20, v20, 2.0, -v18
	v_fma_f16 v30, v72, 2.0, -v69
	v_fma_f16 v21, v21, 2.0, -v19
	v_fma_f16 v32, v73, 2.0, -v70
	v_pack_b32_f16 v12, v12, v27
	v_pack_b32_f16 v13, v13, v22
	;; [unrolled: 1-line block ×9, first 2 shown]
	ds_write2_b32 v71, v12, v10 offset1:8
	ds_write2_b32 v74, v13, v11 offset1:8
	ds_write2_b32 v75, v14, v29 offset1:8
	ds_write2_b32 v76, v16, v15 offset1:8
	ds_write2_b32 v77, v17, v18 offset1:8
	ds_write2_b32 v78, v20, v19 offset1:8
	v_lshlrev_b32_e32 v10, 2, v26
	v_and_b32_e32 v14, 15, v2
	s_waitcnt lgkmcnt(0)
	s_barrier
	buffer_gl0_inv
	s_clause 0x2
	global_load_dword v68, v24, s[14:15] offset:56
	global_load_dword v69, v31, s[14:15] offset:56
	global_load_ushort v70, v10, s[14:15] offset:58
	v_lshlrev_b32_e32 v11, 2, v14
	s_clause 0x2
	global_load_ushort v73, v31, s[14:15] offset:58
	global_load_ushort v72, v11, s[14:15] offset:56
	;; [unrolled: 1-line block ×3, first 2 shown]
	ds_read2_b32 v[10:11], v60 offset0:80 offset1:136
	ds_read2_b32 v[12:13], v36 offset1:56
	v_and_or_b32 v20, 0xe0, v6, v14
	v_and_or_b32 v22, 0x1e0, v7, v23
	ds_read2_b32 v[6:7], v60 offset0:192 offset1:248
	ds_read2_b32 v[14:15], v36 offset0:112 offset1:168
	v_lshlrev_b32_e32 v80, 2, v4
	v_and_or_b32 v24, 0x1e0, v5, v26
	ds_read2_b32 v[4:5], v3 offset0:48 offset1:104
	ds_read2_b32 v[16:17], v62 offset0:96 offset1:152
	v_lshlrev_b32_e32 v85, 2, v9
	v_lshlrev_b32_e32 v82, 2, v22
	v_and_or_b32 v23, 0x3e0, v93, v23
	v_lshlrev_b32_e32 v83, 2, v24
	v_lshlrev_b32_e32 v81, 2, v20
	v_and_b32_e32 v18, 31, v45
	v_and_b32_e32 v21, 31, v2
	v_lshlrev_b32_e32 v84, 2, v23
	v_and_b32_e32 v27, 31, v91
	s_waitcnt vmcnt(0) lgkmcnt(0)
	v_lshlrev_b32_e32 v19, 3, v18
	s_barrier
	v_lshrrev_b32_e32 v9, 16, v10
	v_lshrrev_b32_e32 v22, 16, v11
	;; [unrolled: 1-line block ×12, first 2 shown]
	buffer_gl0_inv
	v_lshlrev_b32_e32 v25, 3, v21
	v_mul_f16_sdwa v86, v10, v68 dst_sel:DWORD dst_unused:UNUSED_PAD src0_sel:DWORD src1_sel:WORD_1
	v_mul_f16_sdwa v87, v9, v68 dst_sel:DWORD dst_unused:UNUSED_PAD src0_sel:DWORD src1_sel:WORD_1
	;; [unrolled: 1-line block ×6, first 2 shown]
	v_mul_f16_e32 v96, v28, v70
	v_mul_f16_e32 v97, v7, v70
	v_mul_f16_sdwa v98, v4, v68 dst_sel:DWORD dst_unused:UNUSED_PAD src0_sel:DWORD src1_sel:WORD_1
	v_mul_f16_sdwa v99, v30, v68 dst_sel:DWORD dst_unused:UNUSED_PAD src0_sel:DWORD src1_sel:WORD_1
	v_mul_f16_e32 v100, v32, v73
	v_mul_f16_e32 v101, v5, v73
	v_fmac_f16_e32 v86, v9, v68
	v_fma_f16 v9, v10, v68, -v87
	v_fma_f16 v10, v11, v72, -v88
	v_fmac_f16_e32 v89, v22, v72
	v_fmac_f16_e32 v94, v24, v68
	v_fma_f16 v6, v6, v68, -v95
	v_fma_f16 v7, v7, v79, -v96
	v_fmac_f16_e32 v97, v28, v79
	;; [unrolled: 4-line block ×3, first 2 shown]
	v_sub_f16_e32 v11, v20, v86
	v_sub_f16_e32 v9, v12, v9
	;; [unrolled: 1-line block ×12, first 2 shown]
	v_fma_f16 v20, v20, 2.0, -v11
	v_pack_b32_f16 v11, v9, v11
	v_fma_f16 v9, v12, 2.0, -v9
	v_fma_f16 v12, v13, 2.0, -v10
	;; [unrolled: 1-line block ×3, first 2 shown]
	v_pack_b32_f16 v10, v10, v22
	v_fma_f16 v22, v26, 2.0, -v24
	v_pack_b32_f16 v23, v6, v24
	v_fma_f16 v6, v14, 2.0, -v6
	v_fma_f16 v14, v15, 2.0, -v7
	;; [unrolled: 1-line block ×4, first 2 shown]
	v_pack_b32_f16 v26, v4, v30
	v_fma_f16 v4, v16, 2.0, -v4
	v_fma_f16 v16, v17, 2.0, -v5
	;; [unrolled: 1-line block ×3, first 2 shown]
	v_pack_b32_f16 v9, v9, v20
	v_pack_b32_f16 v12, v12, v13
	;; [unrolled: 1-line block ×8, first 2 shown]
	ds_write2_b32 v80, v9, v11 offset1:16
	ds_write2_b32 v81, v12, v10 offset1:16
	;; [unrolled: 1-line block ×6, first 2 shown]
	v_and_b32_e32 v26, 31, v92
	v_lshlrev_b32_e32 v4, 3, v27
	s_waitcnt lgkmcnt(0)
	s_barrier
	buffer_gl0_inv
	s_clause 0x1
	global_load_dwordx2 v[11:12], v19, s[14:15] offset:120
	global_load_dwordx2 v[9:10], v25, s[14:15] offset:120
	v_lshlrev_b32_e32 v5, 3, v26
	s_clause 0x1
	global_load_dwordx2 v[15:16], v4, s[14:15] offset:120
	global_load_dwordx2 v[13:14], v5, s[14:15] offset:120
	v_lshrrev_b32_e32 v4, 5, v45
	v_lshrrev_b32_e32 v6, 5, v2
	;; [unrolled: 1-line block ×4, first 2 shown]
	v_mul_u32_u24_e32 v4, 0x60, v4
	v_mul_u32_u24_e32 v29, 0x60, v6
	ds_read2_b32 v[6:7], v60 offset0:192 offset1:248
	v_mul_u32_u24_e32 v30, 0x60, v17
	v_mul_u32_u24_e32 v31, 0x60, v19
	v_or_b32_e32 v28, v4, v18
	ds_read2_b32 v[4:5], v62 offset0:96 offset1:152
	ds_read2_b32 v[17:18], v36 offset1:56
	ds_read2_b32 v[19:20], v60 offset0:80 offset1:136
	ds_read2_b32 v[24:25], v3 offset0:48 offset1:104
	;; [unrolled: 1-line block ×3, first 2 shown]
	v_or_b32_e32 v3, v29, v21
	v_or_b32_e32 v21, v30, v27
	v_or_b32_e32 v26, v31, v26
	v_lshlrev_b32_e32 v89, 2, v28
	s_waitcnt vmcnt(0) lgkmcnt(0)
	v_lshlrev_b32_e32 v88, 2, v3
	v_lshlrev_b32_e32 v87, 2, v21
	;; [unrolled: 1-line block ×3, first 2 shown]
	s_barrier
	buffer_gl0_inv
	v_lshrrev_b32_e32 v26, 16, v6
	v_lshrrev_b32_e32 v27, 16, v7
	v_lshrrev_b32_e32 v3, 16, v4
	v_lshrrev_b32_e32 v21, 16, v5
	v_lshrrev_b32_e32 v30, 16, v19
	v_lshrrev_b32_e32 v31, 16, v24
	v_lshrrev_b32_e32 v32, 16, v20
	v_lshrrev_b32_e32 v33, 16, v25
	v_lshrrev_b32_e32 v29, 16, v17
	v_lshrrev_b32_e32 v28, 16, v18
	v_lshrrev_b32_e32 v97, 16, v22
	v_lshrrev_b32_e32 v96, 16, v23
	v_mul_f16_sdwa v94, v3, v11 dst_sel:DWORD dst_unused:UNUSED_PAD src0_sel:DWORD src1_sel:WORD_1
	v_mul_f16_sdwa v95, v21, v9 dst_sel:DWORD dst_unused:UNUSED_PAD src0_sel:DWORD src1_sel:WORD_1
	;; [unrolled: 1-line block ×16, first 2 shown]
	v_fma_f16 v4, v4, v11, -v94
	v_fma_f16 v5, v5, v9, -v95
	;; [unrolled: 1-line block ×4, first 2 shown]
	v_fmac_f16_e32 v99, v21, v9
	v_fmac_f16_e32 v102, v27, v10
	;; [unrolled: 1-line block ×6, first 2 shown]
	v_fma_f16 v3, v19, v15, -v106
	v_fma_f16 v19, v24, v16, -v107
	;; [unrolled: 1-line block ×4, first 2 shown]
	v_fmac_f16_e32 v109, v32, v13
	v_fmac_f16_e32 v111, v33, v14
	v_add_f16_e32 v24, v5, v7
	v_add_f16_e32 v26, v99, v102
	;; [unrolled: 1-line block ×8, first 2 shown]
	v_sub_f16_e32 v30, v99, v102
	v_sub_f16_e32 v95, v98, v103
	v_add_f16_e32 v98, v97, v104
	v_sub_f16_e32 v99, v104, v105
	v_add_f16_e32 v100, v104, v105
	v_add_f16_e32 v101, v22, v3
	;; [unrolled: 1-line block ×5, first 2 shown]
	v_sub_f16_e32 v5, v5, v7
	v_sub_f16_e32 v4, v4, v6
	v_fmac_f16_e32 v18, -0.5, v24
	v_fmac_f16_e32 v28, -0.5, v26
	v_fma_f16 v17, -0.5, v31, v17
	v_add_f16_e32 v6, v32, v6
	v_add_f16_e32 v24, v33, v103
	v_fmac_f16_e32 v29, -0.5, v94
	v_sub_f16_e32 v3, v3, v19
	v_add_f16_e32 v107, v23, v20
	v_add_f16_e32 v108, v96, v109
	v_sub_f16_e32 v109, v109, v111
	v_sub_f16_e32 v20, v20, v21
	v_add_f16_e32 v7, v25, v7
	v_add_f16_e32 v25, v27, v102
	;; [unrolled: 1-line block ×4, first 2 shown]
	v_fmac_f16_e32 v97, -0.5, v100
	v_fma_f16 v22, -0.5, v104, v22
	v_fmac_f16_e32 v23, -0.5, v106
	v_fmac_f16_e32 v96, -0.5, v110
	v_fmamk_f16 v31, v30, 0x3aee, v18
	v_fmac_f16_e32 v18, 0xbaee, v30
	v_fmamk_f16 v30, v5, 0xbaee, v28
	v_fmac_f16_e32 v28, 0x3aee, v5
	v_pack_b32_f16 v5, v6, v24
	v_fmamk_f16 v6, v95, 0x3aee, v17
	v_fmamk_f16 v24, v4, 0xbaee, v29
	v_fmac_f16_e32 v17, 0xbaee, v95
	v_fmac_f16_e32 v29, 0x3aee, v4
	v_add_f16_e32 v26, v107, v21
	v_pack_b32_f16 v4, v7, v25
	v_pack_b32_f16 v7, v19, v27
	v_fmamk_f16 v21, v99, 0x3aee, v22
	v_fmamk_f16 v95, v3, 0xbaee, v97
	v_fmac_f16_e32 v22, 0xbaee, v99
	v_fmac_f16_e32 v97, 0x3aee, v3
	v_fmamk_f16 v27, v109, 0x3aee, v23
	v_fmamk_f16 v99, v20, 0xbaee, v96
	v_add_f16_e32 v98, v108, v111
	v_fmac_f16_e32 v23, 0xbaee, v109
	v_fmac_f16_e32 v96, 0x3aee, v20
	v_pack_b32_f16 v6, v6, v24
	v_pack_b32_f16 v17, v17, v29
	;; [unrolled: 1-line block ×9, first 2 shown]
	ds_write2_b32 v89, v5, v6 offset1:32
	ds_write_b32 v89, v17 offset:256
	ds_write2_b32 v88, v4, v19 offset1:32
	ds_write_b32 v88, v18 offset:256
	;; [unrolled: 2-line block ×4, first 2 shown]
	s_waitcnt lgkmcnt(0)
	s_barrier
	buffer_gl0_inv
	ds_read_b32 v103, v36 offset:2304
	ds_read2_b32 v[24:25], v36 offset1:96
	ds_read2_b32 v[32:33], v62 offset0:64 offset1:160
	ds_read2_b32 v[30:31], v60 offset0:128 offset1:224
                                        ; implicit-def: $vgpr101
                                        ; implicit-def: $vgpr100
                                        ; implicit-def: $vgpr102
                                        ; implicit-def: $vgpr29
	s_and_saveexec_b32 s0, vcc_lo
	s_cbranch_execz .LBB0_3
; %bb.2:
	ds_read2_b32 v[21:22], v36 offset0:56 offset1:152
	ds_read2_b32 v[26:27], v62 offset0:120 offset1:216
	ds_read2_b32 v[28:29], v1 offset0:56 offset1:152
	ds_read_b32 v100, v36 offset:2528
	s_waitcnt lgkmcnt(3)
	v_lshrrev_b32_e32 v95, 16, v21
	v_lshrrev_b32_e32 v97, 16, v22
	s_waitcnt lgkmcnt(2)
	v_lshrrev_b32_e32 v98, 16, v26
	v_lshrrev_b32_e32 v99, 16, v27
	;; [unrolled: 3-line block ×3, first 2 shown]
	s_waitcnt lgkmcnt(0)
	v_lshrrev_b32_e32 v102, 16, v100
	v_mov_b32_e32 v23, v28
.LBB0_3:
	s_or_b32 exec_lo, exec_lo, s0
	v_mad_u64_u32 v[0:1], null, v45, 24, s[14:15]
	v_lshlrev_b32_e32 v94, 3, v91
	v_lshlrev_b32_e32 v91, 2, v93
	s_waitcnt lgkmcnt(2)
	v_lshrrev_b32_e32 v28, 16, v25
	s_waitcnt lgkmcnt(1)
	v_lshrrev_b32_e32 v93, 16, v32
	v_lshrrev_b32_e32 v104, 16, v33
	s_waitcnt lgkmcnt(0)
	v_lshrrev_b32_e32 v105, 16, v30
	s_clause 0x1
	global_load_dwordx4 v[4:7], v[0:1], off offset:376
	global_load_dwordx2 v[19:20], v[0:1], off offset:392
	v_subrev_nc_u32_e32 v0, 40, v45
	v_lshrrev_b32_e32 v106, 16, v31
	v_lshrrev_b32_e32 v107, 16, v103
	v_lshlrev_b32_e32 v92, 3, v92
	v_lshlrev_b32_e32 v90, 3, v90
	v_cndmask_b32_e32 v0, v0, v2, vcc_lo
	v_mul_i32_i24_e32 v1, 24, v0
	v_mul_hi_i32_i24_e32 v0, 24, v0
	v_add_co_u32 v17, s0, s14, v1
	v_add_co_ci_u32_e64 v18, s0, s15, v0, s0
	s_clause 0x1
	global_load_dwordx4 v[0:3], v[17:18], off offset:376
	global_load_dwordx2 v[17:18], v[17:18], off offset:392
	s_waitcnt vmcnt(3)
	v_mul_f16_sdwa v108, v28, v4 dst_sel:DWORD dst_unused:UNUSED_PAD src0_sel:DWORD src1_sel:WORD_1
	v_mul_f16_sdwa v109, v25, v4 dst_sel:DWORD dst_unused:UNUSED_PAD src0_sel:DWORD src1_sel:WORD_1
	;; [unrolled: 1-line block ×8, first 2 shown]
	s_waitcnt vmcnt(2)
	v_mul_f16_sdwa v116, v106, v19 dst_sel:DWORD dst_unused:UNUSED_PAD src0_sel:DWORD src1_sel:WORD_1
	v_mul_f16_sdwa v117, v31, v19 dst_sel:DWORD dst_unused:UNUSED_PAD src0_sel:DWORD src1_sel:WORD_1
	v_mul_f16_sdwa v118, v107, v20 dst_sel:DWORD dst_unused:UNUSED_PAD src0_sel:DWORD src1_sel:WORD_1
	v_mul_f16_sdwa v119, v103, v20 dst_sel:DWORD dst_unused:UNUSED_PAD src0_sel:DWORD src1_sel:WORD_1
	v_fma_f16 v25, v25, v4, -v108
	v_fmac_f16_e32 v109, v28, v4
	v_fma_f16 v28, v32, v5, -v110
	v_fmac_f16_e32 v111, v93, v5
	;; [unrolled: 2-line block ×3, first 2 shown]
	v_fma_f16 v30, v30, v7, -v114
	v_fma_f16 v33, v103, v20, -v118
	v_fmac_f16_e32 v119, v107, v20
	v_fmac_f16_e32 v115, v105, v7
	v_fma_f16 v31, v31, v19, -v116
	v_fmac_f16_e32 v117, v106, v19
	v_add_f16_e32 v93, v25, v33
	v_add_f16_e32 v103, v109, v119
	v_sub_f16_e32 v25, v25, v33
	v_sub_f16_e32 v33, v109, v119
	v_add_f16_e32 v104, v28, v31
	v_add_f16_e32 v105, v111, v117
	v_sub_f16_e32 v28, v28, v31
	v_sub_f16_e32 v31, v111, v117
	;; [unrolled: 4-line block ×3, first 2 shown]
	s_waitcnt vmcnt(1)
	v_mul_f16_sdwa v108, v97, v0 dst_sel:DWORD dst_unused:UNUSED_PAD src0_sel:DWORD src1_sel:WORD_1
	v_mul_f16_sdwa v109, v22, v0 dst_sel:DWORD dst_unused:UNUSED_PAD src0_sel:DWORD src1_sel:WORD_1
	v_mul_f16_sdwa v110, v98, v1 dst_sel:DWORD dst_unused:UNUSED_PAD src0_sel:DWORD src1_sel:WORD_1
	v_mul_f16_sdwa v111, v26, v1 dst_sel:DWORD dst_unused:UNUSED_PAD src0_sel:DWORD src1_sel:WORD_1
	v_mul_f16_sdwa v115, v23, v3 dst_sel:DWORD dst_unused:UNUSED_PAD src0_sel:DWORD src1_sel:WORD_1
	s_waitcnt vmcnt(0)
	v_mul_f16_sdwa v116, v101, v17 dst_sel:DWORD dst_unused:UNUSED_PAD src0_sel:DWORD src1_sel:WORD_1
	v_mul_f16_sdwa v117, v29, v17 dst_sel:DWORD dst_unused:UNUSED_PAD src0_sel:DWORD src1_sel:WORD_1
	;; [unrolled: 1-line block ×7, first 2 shown]
	v_add_f16_e32 v120, v104, v93
	v_add_f16_e32 v121, v105, v103
	v_sub_f16_e32 v122, v104, v93
	v_sub_f16_e32 v123, v105, v103
	;; [unrolled: 1-line block ×4, first 2 shown]
	v_add_f16_e32 v124, v30, v28
	v_sub_f16_e32 v126, v30, v28
	v_sub_f16_e32 v127, v32, v31
	;; [unrolled: 1-line block ×3, first 2 shown]
	v_fma_f16 v22, v22, v0, -v108
	v_fmac_f16_e32 v109, v97, v0
	v_fma_f16 v26, v26, v1, -v110
	v_fmac_f16_e32 v111, v98, v1
	v_fmac_f16_e32 v115, v96, v3
	v_fma_f16 v29, v29, v17, -v116
	v_fmac_f16_e32 v117, v101, v17
	v_fma_f16 v96, v100, v18, -v118
	v_fmac_f16_e32 v119, v102, v18
	v_sub_f16_e32 v104, v106, v104
	v_sub_f16_e32 v105, v107, v105
	v_add_f16_e32 v125, v32, v31
	v_sub_f16_e32 v30, v25, v30
	v_sub_f16_e32 v32, v33, v32
	;; [unrolled: 1-line block ×3, first 2 shown]
	v_fma_f16 v27, v27, v2, -v112
	v_fmac_f16_e32 v113, v99, v2
	v_fma_f16 v23, v23, v3, -v114
	v_add_f16_e32 v97, v106, v120
	v_add_f16_e32 v98, v107, v121
	;; [unrolled: 1-line block ×3, first 2 shown]
	v_mul_f16_e32 v25, 0x3a52, v93
	v_mul_f16_e32 v93, 0x3a52, v103
	;; [unrolled: 1-line block ×5, first 2 shown]
	v_add_f16_e32 v108, v22, v96
	v_add_f16_e32 v110, v109, v119
	v_sub_f16_e32 v22, v22, v96
	v_sub_f16_e32 v96, v109, v119
	v_add_f16_e32 v109, v26, v29
	v_add_f16_e32 v112, v111, v117
	v_mul_f16_e32 v100, 0x2b26, v104
	v_mul_f16_e32 v101, 0x2b26, v105
	;; [unrolled: 1-line block ×3, first 2 shown]
	v_sub_f16_e32 v29, v26, v29
	v_sub_f16_e32 v111, v111, v117
	v_add_f16_e32 v114, v27, v23
	v_add_f16_e32 v116, v113, v115
	v_sub_f16_e32 v27, v23, v27
	v_sub_f16_e32 v113, v115, v113
	v_add_f16_e32 v115, v24, v97
	v_add_f16_sdwa v117, v24, v98 dst_sel:DWORD dst_unused:UNUSED_PAD src0_sel:WORD_1 src1_sel:DWORD
	v_fmamk_f16 v120, v30, 0x3574, v102
	v_fmamk_f16 v121, v32, 0x3574, v103
	v_fma_f16 v28, v28, 0x3b00, -v102
	v_fma_f16 v102, v31, 0x3b00, -v103
	;; [unrolled: 1-line block ×3, first 2 shown]
	v_add_f16_e32 v30, v109, v108
	v_add_f16_e32 v31, v112, v110
	;; [unrolled: 1-line block ×3, first 2 shown]
	v_fmamk_f16 v104, v104, 0x2b26, v25
	v_fmamk_f16 v105, v105, 0x2b26, v93
	v_fma_f16 v118, v122, 0x39e0, -v100
	v_fma_f16 v101, v123, 0x39e0, -v101
	;; [unrolled: 1-line block ×5, first 2 shown]
	v_sub_f16_e32 v23, v109, v108
	v_sub_f16_e32 v25, v112, v110
	;; [unrolled: 1-line block ×6, first 2 shown]
	v_add_f16_e32 v107, v27, v29
	v_add_f16_e32 v108, v113, v111
	v_sub_f16_e32 v109, v27, v29
	v_sub_f16_e32 v110, v113, v111
	;; [unrolled: 1-line block ×5, first 2 shown]
	v_fmamk_f16 v113, v97, 0xbcab, v115
	v_fmamk_f16 v122, v98, 0xbcab, v117
	v_add_f16_e32 v114, v114, v30
	v_add_f16_e32 v116, v116, v31
	v_sub_f16_e32 v27, v22, v27
	v_fmac_f16_e32 v121, 0x370e, v33
	v_fmac_f16_e32 v28, 0x370e, v99
	;; [unrolled: 1-line block ×5, first 2 shown]
	v_add_f16_e32 v98, v107, v22
	v_add_f16_e32 v31, v108, v96
	v_mul_f16_e32 v22, 0x3a52, v32
	v_mul_f16_e32 v96, 0x3a52, v100
	;; [unrolled: 1-line block ×6, first 2 shown]
	v_add_f16_e32 v29, v104, v113
	v_add_f16_e32 v104, v105, v122
	;; [unrolled: 1-line block ×8, first 2 shown]
	v_fmac_f16_e32 v120, 0x370e, v99
	v_pack_b32_f16 v115, v115, v117
	v_fmamk_f16 v109, v24, 0x2b26, v22
	v_fmamk_f16 v110, v26, 0x2b26, v96
	v_fma_f16 v22, v23, 0xb9e0, -v22
	v_fma_f16 v111, v25, 0xb9e0, -v96
	v_fmamk_f16 v93, v27, 0x3574, v97
	v_fmamk_f16 v95, v112, 0x3574, v32
	v_fma_f16 v99, v27, 0xb574, -v100
	v_fma_f16 v96, v112, 0xb574, -v33
	v_add_f16_e32 v113, v106, v107
	v_sub_f16_e32 v117, v108, v103
	v_sub_f16_e32 v118, v105, v102
	v_add_f16_e32 v119, v28, v101
	v_add_f16_e32 v105, v102, v105
	v_sub_f16_e32 v28, v101, v28
	v_sub_f16_e32 v106, v107, v106
	v_add_f16_e32 v103, v103, v108
	v_fmamk_f16 v101, v114, 0xbcab, v21
	v_fmamk_f16 v102, v116, 0xbcab, v30
	v_add_f16_e32 v27, v121, v29
	v_sub_f16_e32 v112, v104, v120
	v_sub_f16_e32 v29, v29, v121
	v_add_f16_e32 v107, v120, v104
	v_fmac_f16_e32 v93, 0x370e, v98
	v_fmac_f16_e32 v95, 0x370e, v31
	;; [unrolled: 1-line block ×4, first 2 shown]
	v_pack_b32_f16 v114, v105, v28
	v_pack_b32_f16 v116, v106, v103
	v_add_f16_e32 v103, v22, v101
	v_add_f16_e32 v106, v111, v102
	;; [unrolled: 1-line block ×4, first 2 shown]
	v_pack_b32_f16 v108, v27, v112
	v_pack_b32_f16 v107, v29, v107
	v_sub_f16_e32 v22, v103, v96
	v_add_f16_e32 v27, v99, v106
	v_sub_f16_e32 v28, v104, v95
	v_add_f16_e32 v29, v93, v105
	v_pack_b32_f16 v112, v113, v117
	v_pack_b32_f16 v113, v118, v119
	ds_write2_b32 v36, v115, v108 offset1:96
	ds_write2_b32 v62, v112, v113 offset0:64 offset1:160
	ds_write2_b32 v60, v114, v116 offset0:128 offset1:224
	ds_write_b32 v36, v107 offset:2304
	s_and_saveexec_b32 s0, vcc_lo
	s_cbranch_execz .LBB0_5
; %bb.4:
	v_mul_f16_e32 v26, 0x2b26, v26
	v_mul_f16_e32 v25, 0x39e0, v25
	v_mul_f16_e32 v24, 0x2b26, v24
	v_mul_f16_e32 v23, 0x39e0, v23
	v_mul_f16_e32 v60, 0x370e, v98
	v_sub_f16_e32 v62, v100, v97
	v_sub_f16_e32 v25, v25, v26
	v_mul_f16_e32 v26, 0x370e, v31
	v_sub_f16_e32 v32, v33, v32
	v_sub_f16_e32 v23, v23, v24
	v_add_f16_e32 v31, v60, v62
	v_add_f16_e32 v24, v25, v102
	;; [unrolled: 1-line block ×5, first 2 shown]
	v_sub_f16_e32 v32, v105, v93
	v_sub_f16_e32 v26, v24, v31
	v_add_f16_e32 v24, v31, v24
	v_sub_f16_e32 v31, v106, v99
	v_add_f16_e32 v60, v96, v103
	;; [unrolled: 2-line block ×3, first 2 shown]
	v_perm_b32 v21, v30, v21, 0x5040100
	v_pack_b32_f16 v25, v33, v32
	v_pack_b32_f16 v30, v60, v31
	;; [unrolled: 1-line block ×3, first 2 shown]
	v_add_nc_u32_e32 v31, 0x200, v36
	v_pack_b32_f16 v23, v23, v26
	v_perm_b32 v26, v27, v22, 0x5040100
	v_add_nc_u32_e32 v32, 0x600, v36
	v_perm_b32 v33, v29, v28, 0x5040100
	ds_write2_b32 v36, v21, v25 offset0:56 offset1:152
	ds_write2_b32 v31, v30, v24 offset0:120 offset1:216
	;; [unrolled: 1-line block ×3, first 2 shown]
	ds_write_b32 v36, v33 offset:2528
.LBB0_5:
	s_or_b32 exec_lo, exec_lo, s0
	v_lshlrev_b32_e32 v21, 2, v45
	s_waitcnt lgkmcnt(0)
	s_barrier
	buffer_gl0_inv
	v_add_co_u32 v21, s0, s12, v21
	v_add_co_ci_u32_e64 v26, null, s13, 0, s0
	v_add_co_u32 v23, s0, 0x800, v21
	v_add_co_ci_u32_e64 v24, s0, 0, v26, s0
	global_load_dword v30, v[23:24], off offset:640
	v_add_co_u32 v23, s0, 0xa80, v21
	v_add_co_ci_u32_e64 v24, s0, 0, v26, s0
	v_add_co_u32 v25, s0, 0x1000, v21
	s_clause 0x2
	global_load_dword v60, v[23:24], off offset:224
	global_load_dword v62, v[23:24], off offset:1344
	;; [unrolled: 1-line block ×3, first 2 shown]
	v_add_co_ci_u32_e64 v26, s0, 0, v26, s0
	s_clause 0x7
	global_load_dword v101, v[23:24], off offset:448
	global_load_dword v102, v[23:24], off offset:1792
	;; [unrolled: 1-line block ×8, first 2 shown]
	ds_read2_b32 v[23:24], v36 offset1:56
	s_waitcnt lgkmcnt(0)
	v_lshrrev_b32_e32 v21, 16, v23
	v_lshrrev_b32_e32 v99, 16, v24
	s_waitcnt vmcnt(11)
	v_mul_f16_sdwa v25, v21, v30 dst_sel:DWORD dst_unused:UNUSED_PAD src0_sel:DWORD src1_sel:WORD_1
	v_mul_f16_sdwa v31, v23, v30 dst_sel:DWORD dst_unused:UNUSED_PAD src0_sel:DWORD src1_sel:WORD_1
	v_fma_f16 v23, v23, v30, -v25
	v_fmac_f16_e32 v31, v21, v30
	v_add_nc_u32_e32 v30, 0x400, v36
	s_waitcnt vmcnt(10)
	v_mul_f16_sdwa v108, v24, v60 dst_sel:DWORD dst_unused:UNUSED_PAD src0_sel:DWORD src1_sel:WORD_1
	v_add_nc_u32_e32 v25, 0x800, v36
	v_pack_b32_f16 v21, v23, v31
	v_add_nc_u32_e32 v31, 0x200, v36
	v_fmac_f16_e32 v108, v99, v60
	ds_write_b32 v36, v21
	v_mul_f16_sdwa v21, v99, v60 dst_sel:DWORD dst_unused:UNUSED_PAD src0_sel:DWORD src1_sel:WORD_1
	ds_read2_b32 v[32:33], v30 offset0:80 offset1:136
	ds_read2_b32 v[95:96], v36 offset0:112 offset1:168
	;; [unrolled: 1-line block ×4, first 2 shown]
	v_fma_f16 v109, v24, v60, -v21
	ds_read2_b32 v[23:24], v31 offset0:96 offset1:152
	v_add_nc_u32_e32 v21, 0x600, v36
	v_pack_b32_f16 v60, v109, v108
	s_waitcnt lgkmcnt(4)
	v_lshrrev_b32_e32 v108, 16, v32
	s_waitcnt vmcnt(9)
	v_mul_f16_sdwa v109, v32, v62 dst_sel:DWORD dst_unused:UNUSED_PAD src0_sel:DWORD src1_sel:WORD_1
	v_lshrrev_b32_e32 v110, 16, v33
	s_waitcnt vmcnt(8)
	v_mul_f16_sdwa v111, v33, v93 dst_sel:DWORD dst_unused:UNUSED_PAD src0_sel:DWORD src1_sel:WORD_1
	s_waitcnt lgkmcnt(3)
	v_lshrrev_b32_e32 v112, 16, v95
	s_waitcnt vmcnt(7)
	v_mul_f16_sdwa v113, v95, v101 dst_sel:DWORD dst_unused:UNUSED_PAD src0_sel:DWORD src1_sel:WORD_1
	s_waitcnt lgkmcnt(2)
	v_lshrrev_b32_e32 v114, 16, v97
	s_waitcnt vmcnt(6)
	v_mul_f16_sdwa v115, v97, v102 dst_sel:DWORD dst_unused:UNUSED_PAD src0_sel:DWORD src1_sel:WORD_1
	v_lshrrev_b32_e32 v116, 16, v96
	s_waitcnt vmcnt(5)
	v_mul_f16_sdwa v117, v96, v103 dst_sel:DWORD dst_unused:UNUSED_PAD src0_sel:DWORD src1_sel:WORD_1
	;; [unrolled: 3-line block ×3, first 2 shown]
	s_waitcnt lgkmcnt(0)
	v_lshrrev_b32_e32 v120, 16, v23
	s_waitcnt vmcnt(1)
	v_mul_f16_sdwa v121, v23, v106 dst_sel:DWORD dst_unused:UNUSED_PAD src0_sel:DWORD src1_sel:WORD_1
	v_lshrrev_b32_e32 v122, 16, v99
	v_mul_f16_sdwa v123, v99, v104 dst_sel:DWORD dst_unused:UNUSED_PAD src0_sel:DWORD src1_sel:WORD_1
	v_lshrrev_b32_e32 v124, 16, v24
	s_waitcnt vmcnt(0)
	v_mul_f16_sdwa v125, v24, v107 dst_sel:DWORD dst_unused:UNUSED_PAD src0_sel:DWORD src1_sel:WORD_1
	v_lshrrev_b32_e32 v126, 16, v100
	v_mul_f16_sdwa v128, v108, v62 dst_sel:DWORD dst_unused:UNUSED_PAD src0_sel:DWORD src1_sel:WORD_1
	v_fmac_f16_e32 v109, v108, v62
	v_mul_f16_sdwa v108, v110, v93 dst_sel:DWORD dst_unused:UNUSED_PAD src0_sel:DWORD src1_sel:WORD_1
	v_fmac_f16_e32 v111, v110, v93
	;; [unrolled: 2-line block ×8, first 2 shown]
	v_mul_f16_sdwa v122, v124, v107 dst_sel:DWORD dst_unused:UNUSED_PAD src0_sel:DWORD src1_sel:WORD_1
	v_mul_f16_sdwa v127, v100, v26 dst_sel:DWORD dst_unused:UNUSED_PAD src0_sel:DWORD src1_sel:WORD_1
	v_fmac_f16_e32 v125, v124, v107
	v_mul_f16_sdwa v124, v126, v26 dst_sel:DWORD dst_unused:UNUSED_PAD src0_sel:DWORD src1_sel:WORD_1
	v_fma_f16 v32, v32, v62, -v128
	v_fma_f16 v62, v95, v101, -v110
	;; [unrolled: 1-line block ×9, first 2 shown]
	v_fmac_f16_e32 v127, v126, v26
	v_fma_f16 v26, v100, v26, -v124
	v_pack_b32_f16 v62, v62, v113
	v_pack_b32_f16 v33, v33, v111
	;; [unrolled: 1-line block ×10, first 2 shown]
	ds_write2_b32 v36, v60, v62 offset0:56 offset1:112
	ds_write2_b32 v30, v33, v93 offset0:136 offset1:192
	;; [unrolled: 1-line block ×5, first 2 shown]
	ds_write_b32 v36, v26 offset:2464
	s_waitcnt lgkmcnt(0)
	s_barrier
	buffer_gl0_inv
	ds_read2_b32 v[23:24], v36 offset1:56
	ds_read2_b32 v[32:33], v30 offset0:80 offset1:136
	ds_read2_b32 v[95:96], v36 offset0:112 offset1:168
	;; [unrolled: 1-line block ×5, first 2 shown]
	s_waitcnt lgkmcnt(0)
	s_barrier
	buffer_gl0_inv
	v_pk_add_f16 v103, v23, v32 neg_lo:[0,1] neg_hi:[0,1]
	v_pk_add_f16 v33, v24, v33 neg_lo:[0,1] neg_hi:[0,1]
	;; [unrolled: 1-line block ×6, first 2 shown]
	v_pk_fma_f16 v102, v23, 2.0, v103 op_sel_hi:[1,0,1] neg_lo:[0,0,1] neg_hi:[0,0,1]
	v_pk_fma_f16 v32, v24, 2.0, v33 op_sel_hi:[1,0,1] neg_lo:[0,0,1] neg_hi:[0,0,1]
	;; [unrolled: 1-line block ×6, first 2 shown]
	ds_write_b64 v51, v[102:103]
	ds_write_b64 v50, v[32:33]
	;; [unrolled: 1-line block ×6, first 2 shown]
	s_waitcnt lgkmcnt(0)
	s_barrier
	buffer_gl0_inv
	ds_read2_b32 v[23:24], v36 offset1:56
	ds_read2_b32 v[32:33], v30 offset0:80 offset1:136
	ds_read2_b32 v[50:51], v36 offset0:112 offset1:168
	;; [unrolled: 1-line block ×5, first 2 shown]
	s_waitcnt lgkmcnt(0)
	s_barrier
	buffer_gl0_inv
	v_lshrrev_b32_e32 v26, 16, v23
	v_lshrrev_b32_e32 v60, 16, v32
	;; [unrolled: 1-line block ×3, first 2 shown]
	v_mul_f16_sdwa v105, v49, v32 dst_sel:DWORD dst_unused:UNUSED_PAD src0_sel:WORD_1 src1_sel:DWORD
	v_lshrrev_b32_e32 v98, 16, v90
	v_mul_f16_sdwa v106, v49, v33 dst_sel:DWORD dst_unused:UNUSED_PAD src0_sel:WORD_1 src1_sel:DWORD
	v_lshrrev_b32_e32 v100, 16, v91
	v_mul_f16_sdwa v107, v49, v90 dst_sel:DWORD dst_unused:UNUSED_PAD src0_sel:WORD_1 src1_sel:DWORD
	v_lshrrev_b32_e32 v102, 16, v94
	v_mul_f16_sdwa v108, v49, v91 dst_sel:DWORD dst_unused:UNUSED_PAD src0_sel:WORD_1 src1_sel:DWORD
	v_lshrrev_b32_e32 v104, 16, v95
	v_mul_f16_sdwa v109, v49, v94 dst_sel:DWORD dst_unused:UNUSED_PAD src0_sel:WORD_1 src1_sel:DWORD
	v_mul_f16_sdwa v111, v49, v60 dst_sel:DWORD dst_unused:UNUSED_PAD src0_sel:WORD_1 src1_sel:DWORD
	v_fma_f16 v60, v49, v60, -v105
	v_mul_f16_sdwa v105, v49, v96 dst_sel:DWORD dst_unused:UNUSED_PAD src0_sel:WORD_1 src1_sel:DWORD
	v_fma_f16 v96, v49, v96, -v106
	;; [unrolled: 2-line block ×4, first 2 shown]
	v_mul_f16_sdwa v108, v49, v102 dst_sel:DWORD dst_unused:UNUSED_PAD src0_sel:WORD_1 src1_sel:DWORD
	v_mul_f16_sdwa v110, v49, v95 dst_sel:DWORD dst_unused:UNUSED_PAD src0_sel:WORD_1 src1_sel:DWORD
	v_fma_f16 v102, v49, v102, -v109
	v_mul_f16_sdwa v109, v49, v104 dst_sel:DWORD dst_unused:UNUSED_PAD src0_sel:WORD_1 src1_sel:DWORD
	v_fmac_f16_e32 v111, v49, v32
	v_lshrrev_b32_e32 v62, 16, v24
	v_fmac_f16_e32 v105, v49, v33
	v_lshrrev_b32_e32 v97, 16, v50
	;; [unrolled: 2-line block ×5, first 2 shown]
	v_fma_f16 v104, v49, v104, -v110
	v_fmac_f16_e32 v109, v49, v95
	v_sub_f16_e32 v32, v26, v60
	v_sub_f16_e32 v94, v23, v111
	;; [unrolled: 1-line block ×11, first 2 shown]
	v_fma_f16 v26, v26, 2.0, -v32
	v_sub_f16_e32 v102, v93, v109
	v_fma_f16 v23, v23, 2.0, -v94
	v_fma_f16 v62, v62, 2.0, -v33
	;; [unrolled: 1-line block ×11, first 2 shown]
	v_pack_b32_f16 v32, v94, v32
	v_pack_b32_f16 v23, v23, v26
	;; [unrolled: 1-line block ×12, first 2 shown]
	ds_write2_b32 v53, v23, v32 offset1:2
	ds_write2_b32 v54, v24, v33 offset1:2
	;; [unrolled: 1-line block ×6, first 2 shown]
	s_waitcnt lgkmcnt(0)
	s_barrier
	buffer_gl0_inv
	ds_read2_b32 v[23:24], v36 offset1:56
	ds_read2_b32 v[32:33], v30 offset0:80 offset1:136
	ds_read2_b32 v[49:50], v36 offset0:112 offset1:168
	;; [unrolled: 1-line block ×5, first 2 shown]
	s_waitcnt lgkmcnt(0)
	s_barrier
	buffer_gl0_inv
	v_lshrrev_b32_e32 v26, 16, v23
	v_lshrrev_b32_e32 v51, 16, v32
	;; [unrolled: 1-line block ×3, first 2 shown]
	v_mul_f16_sdwa v98, v52, v32 dst_sel:DWORD dst_unused:UNUSED_PAD src0_sel:WORD_1 src1_sel:DWORD
	v_lshrrev_b32_e32 v91, 16, v53
	v_mul_f16_sdwa v99, v52, v33 dst_sel:DWORD dst_unused:UNUSED_PAD src0_sel:WORD_1 src1_sel:DWORD
	v_lshrrev_b32_e32 v93, 16, v54
	;; [unrolled: 2-line block ×3, first 2 shown]
	v_lshrrev_b32_e32 v97, 16, v58
	v_mul_f16_sdwa v101, v52, v54 dst_sel:DWORD dst_unused:UNUSED_PAD src0_sel:WORD_1 src1_sel:DWORD
	v_mul_f16_sdwa v102, v52, v57 dst_sel:DWORD dst_unused:UNUSED_PAD src0_sel:WORD_1 src1_sel:DWORD
	;; [unrolled: 1-line block ×3, first 2 shown]
	v_fma_f16 v51, v52, v51, -v98
	v_mul_f16_sdwa v98, v52, v62 dst_sel:DWORD dst_unused:UNUSED_PAD src0_sel:WORD_1 src1_sel:DWORD
	v_fma_f16 v62, v52, v62, -v99
	v_mul_f16_sdwa v99, v52, v91 dst_sel:DWORD dst_unused:UNUSED_PAD src0_sel:WORD_1 src1_sel:DWORD
	;; [unrolled: 2-line block ×3, first 2 shown]
	v_mul_f16_sdwa v103, v52, v58 dst_sel:DWORD dst_unused:UNUSED_PAD src0_sel:WORD_1 src1_sel:DWORD
	v_fma_f16 v93, v52, v93, -v101
	v_mul_f16_sdwa v101, v52, v95 dst_sel:DWORD dst_unused:UNUSED_PAD src0_sel:WORD_1 src1_sel:DWORD
	v_fma_f16 v95, v52, v95, -v102
	v_mul_f16_sdwa v102, v52, v97 dst_sel:DWORD dst_unused:UNUSED_PAD src0_sel:WORD_1 src1_sel:DWORD
	v_fmac_f16_e32 v104, v52, v32
	v_lshrrev_b32_e32 v60, 16, v24
	v_fmac_f16_e32 v98, v52, v33
	v_lshrrev_b32_e32 v90, 16, v49
	;; [unrolled: 2-line block ×4, first 2 shown]
	v_lshrrev_b32_e32 v96, 16, v56
	v_fma_f16 v97, v52, v97, -v103
	v_fmac_f16_e32 v101, v52, v57
	v_fmac_f16_e32 v102, v52, v58
	v_sub_f16_e32 v32, v26, v51
	v_sub_f16_e32 v57, v23, v104
	;; [unrolled: 1-line block ×12, first 2 shown]
	v_fma_f16 v26, v26, 2.0, -v32
	v_fma_f16 v23, v23, 2.0, -v57
	;; [unrolled: 1-line block ×12, first 2 shown]
	v_pack_b32_f16 v32, v57, v32
	v_pack_b32_f16 v23, v23, v26
	;; [unrolled: 1-line block ×12, first 2 shown]
	ds_write2_b32 v61, v23, v32 offset1:4
	ds_write2_b32 v63, v24, v33 offset1:4
	;; [unrolled: 1-line block ×6, first 2 shown]
	s_waitcnt lgkmcnt(0)
	s_barrier
	buffer_gl0_inv
	ds_read2_b32 v[23:24], v36 offset1:56
	ds_read2_b32 v[32:33], v30 offset0:80 offset1:136
	ds_read2_b32 v[49:50], v36 offset0:112 offset1:168
	;; [unrolled: 1-line block ×5, first 2 shown]
	s_waitcnt lgkmcnt(0)
	s_barrier
	buffer_gl0_inv
	v_lshrrev_b32_e32 v26, 16, v23
	v_lshrrev_b32_e32 v57, 16, v32
	;; [unrolled: 1-line block ×3, first 2 shown]
	v_mul_f16_sdwa v91, v59, v32 dst_sel:DWORD dst_unused:UNUSED_PAD src0_sel:WORD_1 src1_sel:DWORD
	v_lshrrev_b32_e32 v62, 16, v51
	v_mul_f16_sdwa v92, v59, v33 dst_sel:DWORD dst_unused:UNUSED_PAD src0_sel:WORD_1 src1_sel:DWORD
	v_lshrrev_b32_e32 v64, 16, v52
	;; [unrolled: 2-line block ×3, first 2 shown]
	v_lshrrev_b32_e32 v90, 16, v56
	v_mul_f16_sdwa v94, v59, v52 dst_sel:DWORD dst_unused:UNUSED_PAD src0_sel:WORD_1 src1_sel:DWORD
	v_mul_f16_sdwa v95, v59, v55 dst_sel:DWORD dst_unused:UNUSED_PAD src0_sel:WORD_1 src1_sel:DWORD
	;; [unrolled: 1-line block ×3, first 2 shown]
	v_fma_f16 v57, v59, v57, -v91
	v_mul_f16_sdwa v91, v59, v60 dst_sel:DWORD dst_unused:UNUSED_PAD src0_sel:WORD_1 src1_sel:DWORD
	v_fma_f16 v60, v59, v60, -v92
	v_mul_f16_sdwa v92, v59, v62 dst_sel:DWORD dst_unused:UNUSED_PAD src0_sel:WORD_1 src1_sel:DWORD
	;; [unrolled: 2-line block ×3, first 2 shown]
	v_mul_f16_sdwa v96, v59, v56 dst_sel:DWORD dst_unused:UNUSED_PAD src0_sel:WORD_1 src1_sel:DWORD
	v_fma_f16 v64, v59, v64, -v94
	v_mul_f16_sdwa v94, v59, v66 dst_sel:DWORD dst_unused:UNUSED_PAD src0_sel:WORD_1 src1_sel:DWORD
	v_fma_f16 v66, v59, v66, -v95
	v_mul_f16_sdwa v95, v59, v90 dst_sel:DWORD dst_unused:UNUSED_PAD src0_sel:WORD_1 src1_sel:DWORD
	v_fmac_f16_e32 v97, v59, v32
	v_lshrrev_b32_e32 v58, 16, v24
	v_fmac_f16_e32 v91, v59, v33
	v_lshrrev_b32_e32 v61, 16, v49
	;; [unrolled: 2-line block ×4, first 2 shown]
	v_lshrrev_b32_e32 v67, 16, v54
	v_fma_f16 v90, v59, v90, -v96
	v_fmac_f16_e32 v94, v59, v55
	v_fmac_f16_e32 v95, v59, v56
	v_sub_f16_e32 v32, v26, v57
	v_sub_f16_e32 v57, v23, v97
	v_sub_f16_e32 v33, v58, v60
	v_sub_f16_e32 v59, v24, v91
	v_sub_f16_e32 v51, v61, v62
	v_sub_f16_e32 v60, v49, v92
	v_sub_f16_e32 v52, v63, v64
	v_sub_f16_e32 v62, v50, v93
	v_sub_f16_e32 v55, v65, v66
	v_sub_f16_e32 v56, v67, v90
	v_sub_f16_e32 v64, v53, v94
	v_sub_f16_e32 v66, v54, v95
	v_fma_f16 v26, v26, 2.0, -v32
	v_fma_f16 v23, v23, 2.0, -v57
	;; [unrolled: 1-line block ×12, first 2 shown]
	v_pack_b32_f16 v32, v57, v32
	v_pack_b32_f16 v23, v23, v26
	;; [unrolled: 1-line block ×12, first 2 shown]
	ds_write2_b32 v71, v23, v32 offset1:8
	ds_write2_b32 v74, v24, v33 offset1:8
	;; [unrolled: 1-line block ×6, first 2 shown]
	s_waitcnt lgkmcnt(0)
	s_barrier
	buffer_gl0_inv
	ds_read2_b32 v[23:24], v36 offset1:56
	ds_read2_b32 v[32:33], v30 offset0:80 offset1:136
	ds_read2_b32 v[49:50], v36 offset0:112 offset1:168
	;; [unrolled: 1-line block ×5, first 2 shown]
	s_waitcnt lgkmcnt(0)
	s_barrier
	buffer_gl0_inv
	v_lshrrev_b32_e32 v26, 16, v23
	v_lshrrev_b32_e32 v57, 16, v32
	;; [unrolled: 1-line block ×3, first 2 shown]
	v_mul_f16_sdwa v71, v68, v32 dst_sel:DWORD dst_unused:UNUSED_PAD src0_sel:WORD_1 src1_sel:DWORD
	v_lshrrev_b32_e32 v61, 16, v51
	v_mul_f16_sdwa v74, v69, v33 dst_sel:DWORD dst_unused:UNUSED_PAD src0_sel:WORD_1 src1_sel:DWORD
	v_lshrrev_b32_e32 v63, 16, v52
	v_lshrrev_b32_e32 v65, 16, v55
	;; [unrolled: 1-line block ×3, first 2 shown]
	v_mul_f16_sdwa v75, v68, v51 dst_sel:DWORD dst_unused:UNUSED_PAD src0_sel:WORD_1 src1_sel:DWORD
	v_mul_f16_sdwa v90, v68, v57 dst_sel:DWORD dst_unused:UNUSED_PAD src0_sel:WORD_1 src1_sel:DWORD
	v_fma_f16 v57, v68, v57, -v71
	v_mul_f16_sdwa v71, v69, v59 dst_sel:DWORD dst_unused:UNUSED_PAD src0_sel:WORD_1 src1_sel:DWORD
	v_fma_f16 v59, v72, v59, -v74
	v_mul_f16_sdwa v74, v68, v61 dst_sel:DWORD dst_unused:UNUSED_PAD src0_sel:WORD_1 src1_sel:DWORD
	v_mul_f16_e32 v76, v70, v52
	v_mul_f16_e32 v70, v70, v63
	v_mul_f16_sdwa v77, v68, v55 dst_sel:DWORD dst_unused:UNUSED_PAD src0_sel:WORD_1 src1_sel:DWORD
	v_mul_f16_e32 v78, v73, v56
	v_fma_f16 v61, v68, v61, -v75
	v_mul_f16_sdwa v75, v68, v65 dst_sel:DWORD dst_unused:UNUSED_PAD src0_sel:WORD_1 src1_sel:DWORD
	v_mul_f16_e32 v73, v73, v67
	v_fmac_f16_e32 v90, v68, v32
	v_lshrrev_b32_e32 v58, 16, v24
	v_fmac_f16_e32 v71, v72, v33
	v_lshrrev_b32_e32 v60, 16, v49
	v_fmac_f16_e32 v74, v68, v51
	v_lshrrev_b32_e32 v62, 16, v50
	v_fma_f16 v63, v79, v63, -v76
	v_fmac_f16_e32 v70, v79, v52
	v_lshrrev_b32_e32 v64, 16, v53
	v_lshrrev_b32_e32 v66, 16, v54
	v_fma_f16 v65, v68, v65, -v77
	v_fma_f16 v67, v69, v67, -v78
	v_fmac_f16_e32 v75, v68, v55
	v_fmac_f16_e32 v73, v69, v56
	v_sub_f16_e32 v32, v26, v57
	v_sub_f16_e32 v57, v23, v90
	v_sub_f16_e32 v33, v58, v59
	v_sub_f16_e32 v59, v24, v71
	v_sub_f16_e32 v51, v60, v61
	v_sub_f16_e32 v61, v49, v74
	v_sub_f16_e32 v52, v62, v63
	v_sub_f16_e32 v63, v50, v70
	v_sub_f16_e32 v55, v64, v65
	v_sub_f16_e32 v56, v66, v67
	v_sub_f16_e32 v65, v53, v75
	v_sub_f16_e32 v67, v54, v73
	v_fma_f16 v26, v26, 2.0, -v32
	v_fma_f16 v23, v23, 2.0, -v57
	;; [unrolled: 1-line block ×12, first 2 shown]
	v_pack_b32_f16 v32, v57, v32
	v_pack_b32_f16 v23, v23, v26
	;; [unrolled: 1-line block ×12, first 2 shown]
	ds_write2_b32 v80, v23, v32 offset1:16
	ds_write2_b32 v81, v24, v33 offset1:16
	;; [unrolled: 1-line block ×6, first 2 shown]
	s_waitcnt lgkmcnt(0)
	s_barrier
	buffer_gl0_inv
	ds_read2_b32 v[50:51], v36 offset1:56
	ds_read2_b32 v[52:53], v31 offset0:96 offset1:152
	ds_read2_b32 v[54:55], v30 offset0:192 offset1:248
	;; [unrolled: 1-line block ×5, first 2 shown]
	s_waitcnt lgkmcnt(0)
	s_barrier
	buffer_gl0_inv
	v_lshrrev_b32_e32 v58, 16, v50
	v_lshrrev_b32_e32 v49, 16, v52
	;; [unrolled: 1-line block ×3, first 2 shown]
	v_mul_f16_sdwa v67, v11, v52 dst_sel:DWORD dst_unused:UNUSED_PAD src0_sel:WORD_1 src1_sel:DWORD
	v_lshrrev_b32_e32 v61, 16, v53
	v_lshrrev_b32_e32 v62, 16, v55
	v_mul_f16_sdwa v68, v12, v54 dst_sel:DWORD dst_unused:UNUSED_PAD src0_sel:WORD_1 src1_sel:DWORD
	v_mul_f16_sdwa v69, v9, v53 dst_sel:DWORD dst_unused:UNUSED_PAD src0_sel:WORD_1 src1_sel:DWORD
	v_lshrrev_b32_e32 v63, 16, v56
	v_lshrrev_b32_e32 v64, 16, v25
	v_mul_f16_sdwa v70, v10, v55 dst_sel:DWORD dst_unused:UNUSED_PAD src0_sel:WORD_1 src1_sel:DWORD
	v_mul_f16_sdwa v71, v15, v56 dst_sel:DWORD dst_unused:UNUSED_PAD src0_sel:WORD_1 src1_sel:DWORD
	v_lshrrev_b32_e32 v65, 16, v57
	v_lshrrev_b32_e32 v66, 16, v26
	v_mul_f16_sdwa v72, v16, v25 dst_sel:DWORD dst_unused:UNUSED_PAD src0_sel:WORD_1 src1_sel:DWORD
	v_mul_f16_sdwa v73, v13, v57 dst_sel:DWORD dst_unused:UNUSED_PAD src0_sel:WORD_1 src1_sel:DWORD
	v_mul_f16_sdwa v75, v11, v49 dst_sel:DWORD dst_unused:UNUSED_PAD src0_sel:WORD_1 src1_sel:DWORD
	v_fma_f16 v49, v11, v49, -v67
	v_mul_f16_sdwa v67, v12, v59 dst_sel:DWORD dst_unused:UNUSED_PAD src0_sel:WORD_1 src1_sel:DWORD
	v_mul_f16_sdwa v74, v14, v26 dst_sel:DWORD dst_unused:UNUSED_PAD src0_sel:WORD_1 src1_sel:DWORD
	v_fma_f16 v59, v12, v59, -v68
	v_mul_f16_sdwa v68, v9, v61 dst_sel:DWORD dst_unused:UNUSED_PAD src0_sel:WORD_1 src1_sel:DWORD
	v_fma_f16 v61, v9, v61, -v69
	;; [unrolled: 2-line block ×4, first 2 shown]
	v_mul_f16_sdwa v71, v16, v64 dst_sel:DWORD dst_unused:UNUSED_PAD src0_sel:WORD_1 src1_sel:DWORD
	v_lshrrev_b32_e32 v60, 16, v51
	v_fma_f16 v64, v16, v64, -v72
	v_mul_f16_sdwa v72, v13, v65 dst_sel:DWORD dst_unused:UNUSED_PAD src0_sel:WORD_1 src1_sel:DWORD
	v_fma_f16 v65, v13, v65, -v73
	v_mul_f16_sdwa v73, v14, v66 dst_sel:DWORD dst_unused:UNUSED_PAD src0_sel:WORD_1 src1_sel:DWORD
	v_fmac_f16_e32 v75, v11, v52
	v_fmac_f16_e32 v67, v12, v54
	v_fma_f16 v66, v14, v66, -v74
	v_fmac_f16_e32 v68, v9, v53
	v_fmac_f16_e32 v69, v10, v55
	;; [unrolled: 1-line block ×4, first 2 shown]
	v_add_f16_e32 v10, v58, v49
	v_add_f16_e32 v11, v49, v59
	v_lshrrev_b32_e32 v33, 16, v23
	v_fmac_f16_e32 v72, v13, v57
	v_fmac_f16_e32 v73, v14, v26
	v_add_f16_e32 v13, v60, v61
	v_add_f16_e32 v25, v63, v64
	;; [unrolled: 1-line block ×3, first 2 shown]
	v_lshrrev_b32_e32 v32, 16, v24
	v_add_f16_e32 v14, v61, v62
	v_add_f16_e32 v52, v65, v66
	;; [unrolled: 1-line block ×3, first 2 shown]
	v_sub_f16_e32 v9, v49, v59
	v_add_f16_e32 v55, v10, v59
	v_fmac_f16_e32 v58, -0.5, v11
	v_sub_f16_e32 v10, v75, v67
	v_add_f16_e32 v59, v70, v71
	v_sub_f16_e32 v12, v61, v62
	v_add_f16_e32 v16, v33, v63
	v_add_f16_e32 v53, v50, v75
	;; [unrolled: 1-line block ×3, first 2 shown]
	v_fmac_f16_e32 v33, -0.5, v25
	v_sub_f16_e32 v25, v70, v71
	v_add_f16_e32 v62, v72, v73
	v_fma_f16 v54, -0.5, v54, v50
	v_add_f16_e32 v49, v32, v65
	v_add_f16_e32 v11, v51, v68
	v_fmac_f16_e32 v60, -0.5, v14
	v_sub_f16_e32 v14, v68, v69
	v_fmac_f16_e32 v32, -0.5, v52
	v_sub_f16_e32 v52, v72, v73
	;; [unrolled: 2-line block ×3, first 2 shown]
	v_add_f16_e32 v57, v23, v70
	v_add_f16_e32 v61, v24, v72
	v_fmamk_f16 v63, v10, 0x3aee, v58
	v_fmac_f16_e32 v58, 0xbaee, v10
	v_fma_f16 v10, -0.5, v59, v23
	v_sub_f16_e32 v26, v65, v66
	v_add_f16_e32 v53, v53, v67
	v_fmamk_f16 v23, v25, 0x3aee, v33
	v_fmac_f16_e32 v33, 0xbaee, v25
	v_fmac_f16_e32 v24, -0.5, v62
	v_fmamk_f16 v25, v9, 0xbaee, v54
	v_fmac_f16_e32 v54, 0x3aee, v9
	v_add_f16_e32 v16, v16, v64
	v_add_f16_e32 v64, v11, v69
	v_fmamk_f16 v56, v14, 0x3aee, v60
	v_fmamk_f16 v50, v52, 0x3aee, v32
	v_fmac_f16_e32 v32, 0xbaee, v52
	v_fmamk_f16 v52, v12, 0xbaee, v51
	v_fmac_f16_e32 v60, 0xbaee, v14
	v_fmac_f16_e32 v51, 0x3aee, v12
	v_add_f16_e32 v49, v49, v66
	v_add_f16_e32 v14, v57, v71
	;; [unrolled: 1-line block ×3, first 2 shown]
	v_fmamk_f16 v9, v15, 0xbaee, v10
	v_fmac_f16_e32 v10, 0x3aee, v15
	v_fmamk_f16 v12, v26, 0xbaee, v24
	v_fmac_f16_e32 v24, 0x3aee, v26
	v_pack_b32_f16 v15, v53, v55
	v_pack_b32_f16 v25, v25, v63
	;; [unrolled: 1-line block ×12, first 2 shown]
	ds_write2_b32 v89, v15, v25 offset1:32
	ds_write_b32 v89, v26 offset:256
	ds_write2_b32 v88, v13, v52 offset1:32
	ds_write_b32 v88, v51 offset:256
	;; [unrolled: 2-line block ×4, first 2 shown]
	s_waitcnt lgkmcnt(0)
	s_barrier
	buffer_gl0_inv
	ds_read2_b32 v[13:14], v36 offset1:96
	ds_read2_b32 v[25:26], v31 offset0:64 offset1:160
	ds_read2_b32 v[15:16], v30 offset0:128 offset1:224
	ds_read_b32 v51, v36 offset:2304
	s_and_saveexec_b32 s0, vcc_lo
	s_cbranch_execz .LBB0_7
; %bb.6:
	ds_read2_b32 v[9:10], v36 offset0:56 offset1:152
	ds_read2_b32 v[11:12], v31 offset0:120 offset1:216
	;; [unrolled: 1-line block ×3, first 2 shown]
	ds_read_b32 v28, v36 offset:2528
	s_waitcnt lgkmcnt(3)
	v_lshrrev_b32_e32 v23, 16, v9
	v_lshrrev_b32_e32 v33, 16, v10
	s_waitcnt lgkmcnt(2)
	v_lshrrev_b32_e32 v49, 16, v11
	v_lshrrev_b32_e32 v50, 16, v12
	;; [unrolled: 3-line block ×3, first 2 shown]
	s_waitcnt lgkmcnt(0)
	v_lshrrev_b32_e32 v29, 16, v28
	v_mov_b32_e32 v24, v21
.LBB0_7:
	s_or_b32 exec_lo, exec_lo, s0
	s_waitcnt lgkmcnt(3)
	v_lshrrev_b32_e32 v21, 16, v14
	s_waitcnt lgkmcnt(2)
	v_lshrrev_b32_e32 v52, 16, v25
	v_lshrrev_b32_e32 v53, 16, v26
	v_mul_f16_sdwa v54, v4, v14 dst_sel:DWORD dst_unused:UNUSED_PAD src0_sel:WORD_1 src1_sel:DWORD
	s_waitcnt lgkmcnt(1)
	v_lshrrev_b32_e32 v55, 16, v15
	v_mul_f16_sdwa v56, v4, v21 dst_sel:DWORD dst_unused:UNUSED_PAD src0_sel:WORD_1 src1_sel:DWORD
	v_lshrrev_b32_e32 v57, 16, v16
	s_waitcnt lgkmcnt(0)
	v_lshrrev_b32_e32 v58, 16, v51
	v_fma_f16 v21, v4, v21, -v54
	v_mul_f16_sdwa v54, v5, v52 dst_sel:DWORD dst_unused:UNUSED_PAD src0_sel:WORD_1 src1_sel:DWORD
	v_fmac_f16_e32 v56, v4, v14
	v_mul_f16_sdwa v4, v5, v25 dst_sel:DWORD dst_unused:UNUSED_PAD src0_sel:WORD_1 src1_sel:DWORD
	v_mul_f16_sdwa v14, v6, v53 dst_sel:DWORD dst_unused:UNUSED_PAD src0_sel:WORD_1 src1_sel:DWORD
	;; [unrolled: 1-line block ×4, first 2 shown]
	v_fmac_f16_e32 v54, v5, v25
	v_fma_f16 v4, v5, v52, -v4
	v_fmac_f16_e32 v14, v6, v26
	v_fma_f16 v5, v6, v53, -v59
	v_fmac_f16_e32 v60, v7, v15
	v_mul_f16_sdwa v6, v20, v58 dst_sel:DWORD dst_unused:UNUSED_PAD src0_sel:WORD_1 src1_sel:DWORD
	v_mul_f16_sdwa v25, v20, v51 dst_sel:DWORD dst_unused:UNUSED_PAD src0_sel:WORD_1 src1_sel:DWORD
	v_mul_f16_sdwa v15, v7, v15 dst_sel:DWORD dst_unused:UNUSED_PAD src0_sel:WORD_1 src1_sel:DWORD
	v_mul_f16_sdwa v26, v19, v57 dst_sel:DWORD dst_unused:UNUSED_PAD src0_sel:WORD_1 src1_sel:DWORD
	v_mul_f16_sdwa v52, v19, v16 dst_sel:DWORD dst_unused:UNUSED_PAD src0_sel:WORD_1 src1_sel:DWORD
	v_fmac_f16_e32 v6, v20, v51
	v_fma_f16 v20, v20, v58, -v25
	v_fma_f16 v7, v7, v55, -v15
	v_fmac_f16_e32 v26, v19, v16
	v_fma_f16 v15, v19, v57, -v52
	v_add_f16_e32 v16, v56, v6
	v_add_f16_e32 v19, v21, v20
	v_sub_f16_e32 v20, v21, v20
	v_add_f16_e32 v21, v54, v26
	v_add_f16_e32 v25, v4, v15
	v_sub_f16_e32 v26, v54, v26
	v_sub_f16_e32 v4, v4, v15
	v_add_f16_e32 v15, v14, v60
	v_add_f16_e32 v51, v5, v7
	v_sub_f16_e32 v14, v60, v14
	;; [unrolled: 4-line block ×3, first 2 shown]
	v_sub_f16_e32 v53, v21, v16
	v_sub_f16_e32 v54, v25, v19
	;; [unrolled: 1-line block ×6, first 2 shown]
	v_add_f16_e32 v55, v14, v26
	v_add_f16_e32 v56, v5, v4
	v_sub_f16_e32 v57, v14, v26
	v_sub_f16_e32 v58, v5, v4
	v_add_f16_e32 v7, v15, v7
	v_add_f16_e32 v15, v51, v52
	v_sub_f16_e32 v26, v26, v6
	v_sub_f16_e32 v4, v4, v20
	;; [unrolled: 1-line block ×4, first 2 shown]
	v_add_f16_e32 v6, v55, v6
	v_add_f16_e32 v20, v56, v20
	;; [unrolled: 1-line block ×3, first 2 shown]
	v_add_f16_sdwa v13, v13, v15 dst_sel:DWORD dst_unused:UNUSED_PAD src0_sel:WORD_1 src1_sel:DWORD
	v_mul_f16_e32 v16, 0x3a52, v16
	v_mul_f16_e32 v19, 0x3a52, v19
	;; [unrolled: 1-line block ×8, first 2 shown]
	v_fmamk_f16 v7, v7, 0xbcab, v51
	v_fmamk_f16 v15, v15, 0xbcab, v13
	;; [unrolled: 1-line block ×4, first 2 shown]
	v_fma_f16 v52, v53, 0x39e0, -v52
	v_fma_f16 v55, v54, 0x39e0, -v55
	;; [unrolled: 1-line block ×4, first 2 shown]
	v_fmamk_f16 v53, v14, 0xb574, v56
	v_fmamk_f16 v54, v5, 0xb574, v57
	v_fma_f16 v26, v26, 0xbb00, -v56
	v_fma_f16 v4, v4, 0xbb00, -v57
	;; [unrolled: 1-line block ×4, first 2 shown]
	v_add_f16_e32 v21, v21, v7
	v_add_f16_e32 v25, v25, v15
	v_fmac_f16_e32 v53, 0xb70e, v6
	v_fmac_f16_e32 v54, 0xb70e, v20
	v_add_f16_e32 v52, v52, v7
	v_add_f16_e32 v55, v55, v15
	;; [unrolled: 1-line block ×4, first 2 shown]
	v_fmac_f16_e32 v26, 0xb70e, v6
	v_fmac_f16_e32 v5, 0xb70e, v20
	;; [unrolled: 1-line block ×4, first 2 shown]
	v_add_f16_e32 v6, v54, v21
	v_sub_f16_e32 v16, v25, v53
	v_add_f16_e32 v19, v5, v7
	v_sub_f16_e32 v20, v15, v14
	v_sub_f16_e32 v56, v52, v4
	v_add_f16_e32 v57, v26, v55
	v_add_f16_e32 v4, v4, v52
	v_sub_f16_e32 v26, v55, v26
	v_sub_f16_e32 v5, v7, v5
	v_add_f16_e32 v7, v14, v15
	v_sub_f16_e32 v14, v21, v54
	v_add_f16_e32 v15, v53, v25
	v_pack_b32_f16 v13, v51, v13
	v_pack_b32_f16 v6, v6, v16
	;; [unrolled: 1-line block ×7, first 2 shown]
	ds_write2_b32 v36, v13, v6 offset1:96
	ds_write2_b32 v31, v16, v19 offset0:64 offset1:160
	ds_write2_b32 v30, v4, v5 offset0:128 offset1:224
	ds_write_b32 v36, v7 offset:2304
	s_and_saveexec_b32 s0, vcc_lo
	s_cbranch_execz .LBB0_9
; %bb.8:
	v_mul_f16_sdwa v6, v0, v33 dst_sel:DWORD dst_unused:UNUSED_PAD src0_sel:WORD_1 src1_sel:DWORD
	v_mul_f16_sdwa v7, v18, v29 dst_sel:DWORD dst_unused:UNUSED_PAD src0_sel:WORD_1 src1_sel:DWORD
	;; [unrolled: 1-line block ×5, first 2 shown]
	v_fmac_f16_e32 v6, v0, v10
	v_fmac_f16_e32 v7, v18, v28
	;; [unrolled: 1-line block ×3, first 2 shown]
	v_mul_f16_sdwa v10, v0, v10 dst_sel:DWORD dst_unused:UNUSED_PAD src0_sel:WORD_1 src1_sel:DWORD
	v_fma_f16 v14, v18, v29, -v14
	v_mul_f16_sdwa v18, v17, v22 dst_sel:DWORD dst_unused:UNUSED_PAD src0_sel:WORD_1 src1_sel:DWORD
	v_mul_f16_sdwa v11, v1, v11 dst_sel:DWORD dst_unused:UNUSED_PAD src0_sel:WORD_1 src1_sel:DWORD
	;; [unrolled: 1-line block ×3, first 2 shown]
	v_fmac_f16_e32 v5, v2, v12
	v_mul_f16_sdwa v16, v17, v27 dst_sel:DWORD dst_unused:UNUSED_PAD src0_sel:WORD_1 src1_sel:DWORD
	v_fma_f16 v0, v0, v33, -v10
	v_mul_f16_sdwa v10, v2, v12 dst_sel:DWORD dst_unused:UNUSED_PAD src0_sel:WORD_1 src1_sel:DWORD
	v_mul_f16_sdwa v12, v3, v24 dst_sel:DWORD dst_unused:UNUSED_PAD src0_sel:WORD_1 src1_sel:DWORD
	v_fma_f16 v18, v17, v27, -v18
	v_fma_f16 v1, v1, v49, -v11
	v_fmac_f16_e32 v4, v3, v24
	v_fmac_f16_e32 v16, v17, v22
	v_fma_f16 v2, v2, v50, -v10
	v_fma_f16 v3, v3, v32, -v12
	v_add_f16_e32 v10, v14, v0
	v_add_f16_e32 v11, v18, v1
	v_sub_f16_e32 v19, v6, v7
	v_add_f16_e32 v6, v7, v6
	v_add_f16_e32 v17, v3, v2
	;; [unrolled: 1-line block ×4, first 2 shown]
	v_sub_f16_e32 v15, v4, v5
	v_add_f16_e32 v4, v4, v5
	v_sub_f16_e32 v2, v3, v2
	v_sub_f16_e32 v1, v1, v18
	;; [unrolled: 1-line block ×5, first 2 shown]
	v_add_f16_e32 v20, v17, v20
	v_add_f16_e32 v16, v7, v6
	v_sub_f16_e32 v3, v6, v4
	v_sub_f16_e32 v14, v2, v1
	;; [unrolled: 1-line block ×3, first 2 shown]
	v_add_f16_e32 v2, v2, v1
	v_sub_f16_e32 v21, v15, v12
	v_mul_f16_e32 v22, 0x3a52, v22
	v_sub_f16_e32 v17, v17, v11
	v_add_f16_e32 v23, v23, v20
	v_add_f16_e32 v16, v4, v16
	v_sub_f16_e32 v24, v19, v15
	v_add_f16_e32 v15, v15, v12
	v_mul_f16_e32 v3, 0x3a52, v3
	v_sub_f16_e32 v4, v4, v7
	v_sub_f16_e32 v12, v12, v19
	v_add_f16_e32 v2, v2, v0
	v_sub_f16_e32 v0, v1, v0
	v_mul_f16_e32 v21, 0x3846, v21
	v_fmamk_f16 v26, v17, 0x2b26, v22
	v_fmamk_f16 v20, v20, 0xbcab, v23
	v_mul_f16_e32 v13, 0x2b26, v17
	v_add_f16_e32 v9, v9, v16
	v_mul_f16_e32 v14, 0x3846, v14
	v_sub_f16_e32 v10, v11, v10
	v_add_f16_e32 v15, v15, v19
	v_fmamk_f16 v19, v4, 0x2b26, v3
	v_mul_f16_e32 v27, 0xbb00, v12
	v_mul_f16_e32 v4, 0x2b26, v4
	v_sub_f16_e32 v6, v7, v6
	v_mul_f16_e32 v7, 0xbb00, v0
	v_fmamk_f16 v25, v24, 0xb574, v21
	v_add_f16_e32 v5, v26, v20
	v_fmamk_f16 v16, v16, 0xbcab, v9
	v_fmamk_f16 v26, v18, 0xb574, v14
	v_fma_f16 v22, v10, 0xb9e0, -v22
	v_fma_f16 v10, v10, 0x39e0, -v13
	;; [unrolled: 1-line block ×8, first 2 shown]
	v_fmac_f16_e32 v25, 0xb70e, v15
	v_add_f16_e32 v19, v19, v16
	v_fmac_f16_e32 v26, 0xb70e, v2
	v_add_f16_e32 v10, v10, v20
	v_fmac_f16_e32 v12, 0xb70e, v15
	v_fmac_f16_e32 v1, 0xb70e, v15
	v_add_f16_e32 v13, v22, v20
	v_add_f16_e32 v3, v3, v16
	v_fmac_f16_e32 v7, 0xb70e, v2
	v_fmac_f16_e32 v0, 0xb70e, v2
	v_add_f16_e32 v2, v4, v16
	v_add_f16_e32 v17, v25, v5
	v_sub_f16_e32 v15, v10, v12
	v_add_f16_e32 v4, v12, v10
	v_sub_f16_e32 v5, v5, v25
	v_add_f16_e32 v10, v26, v19
	v_add_f16_e32 v6, v1, v13
	v_sub_f16_e32 v14, v3, v7
	v_sub_f16_e32 v1, v13, v1
	v_add_f16_e32 v3, v7, v3
	v_sub_f16_e32 v7, v2, v0
	v_add_f16_e32 v0, v0, v2
	v_sub_f16_e32 v11, v19, v26
	v_pack_b32_f16 v2, v9, v23
	v_pack_b32_f16 v5, v10, v5
	;; [unrolled: 1-line block ×4, first 2 shown]
	v_add_nc_u32_e32 v4, 0x200, v36
	v_pack_b32_f16 v0, v0, v15
	v_pack_b32_f16 v6, v14, v6
	v_add_nc_u32_e32 v7, 0x600, v36
	v_pack_b32_f16 v9, v11, v17
	ds_write2_b32 v36, v2, v5 offset0:56 offset1:152
	ds_write2_b32 v4, v1, v3 offset0:120 offset1:216
	;; [unrolled: 1-line block ×3, first 2 shown]
	ds_write_b32 v36, v9 offset:2528
.LBB0_9:
	s_or_b32 exec_lo, exec_lo, s0
	s_waitcnt lgkmcnt(0)
	s_barrier
	buffer_gl0_inv
	ds_read2_b32 v[0:1], v36 offset1:56
	v_add_nc_u32_e32 v2, 0x400, v36
	v_mad_u64_u32 v[9:10], null, s10, v8, 0
	s_mov_b32 s4, 0x18618618
	s_mov_b32 s5, 0x3f586186
	ds_read2_b32 v[3:4], v2 offset0:80 offset1:136
	s_mul_i32 s7, s8, 0xfffffba0
	s_waitcnt lgkmcnt(1)
	v_lshrrev_b32_e32 v5, 16, v0
	v_mul_f16_sdwa v6, v48, v0 dst_sel:DWORD dst_unused:UNUSED_PAD src0_sel:WORD_1 src1_sel:DWORD
	v_lshrrev_b32_e32 v23, 16, v1
	v_mul_f16_sdwa v7, v48, v5 dst_sel:DWORD dst_unused:UNUSED_PAD src0_sel:WORD_1 src1_sel:DWORD
	v_fma_f16 v5, v48, v5, -v6
	s_waitcnt lgkmcnt(0)
	v_lshrrev_b32_e32 v13, 16, v3
	v_mul_f16_sdwa v6, v47, v3 dst_sel:DWORD dst_unused:UNUSED_PAD src0_sel:WORD_1 src1_sel:DWORD
	v_mul_f16_sdwa v17, v46, v23 dst_sel:DWORD dst_unused:UNUSED_PAD src0_sel:WORD_1 src1_sel:DWORD
	v_fmac_f16_e32 v7, v48, v0
	v_cvt_f32_f16_e32 v0, v5
	v_fma_f16 v14, v47, v13, -v6
	v_fmac_f16_e32 v17, v46, v1
	v_cvt_f32_f16_e32 v7, v7
	v_cvt_f64_f32_e32 v[5:6], v0
	v_cvt_f32_f16_e32 v0, v14
	v_cvt_f64_f32_e32 v[11:12], v7
	v_mul_f16_sdwa v7, v47, v13 dst_sel:DWORD dst_unused:UNUSED_PAD src0_sel:WORD_1 src1_sel:DWORD
	v_mad_u64_u32 v[13:14], null, s8, v45, 0
	v_cvt_f64_f32_e32 v[15:16], v0
	v_mov_b32_e32 v0, v10
	v_fmac_f16_e32 v7, v47, v3
	v_cvt_f32_f16_e32 v10, v17
	v_mov_b32_e32 v3, v14
	v_cvt_f32_f16_e32 v19, v7
	v_mad_u64_u32 v[7:8], null, s11, v8, v[0:1]
	v_cvt_f64_f32_e32 v[17:18], v10
	v_mul_f16_sdwa v0, v46, v1 dst_sel:DWORD dst_unused:UNUSED_PAD src0_sel:WORD_1 src1_sel:DWORD
	v_cvt_f64_f32_e32 v[19:20], v19
	v_mad_u64_u32 v[21:22], null, s9, v45, v[3:4]
	v_mul_f64 v[5:6], v[5:6], s[4:5]
	v_mov_b32_e32 v10, v7
	v_fma_f16 v3, v46, v23, -v0
	v_mul_f64 v[11:12], v[11:12], s[4:5]
	v_lshlrev_b64 v[0:1], 2, v[9:10]
	v_mul_f64 v[7:8], v[15:16], s[4:5]
	v_mov_b32_e32 v14, v21
	v_cvt_f32_f16_e32 v3, v3
	v_add_co_u32 v0, vcc_lo, s2, v0
	v_add_co_ci_u32_e32 v1, vcc_lo, s3, v1, vcc_lo
	s_mul_i32 s3, s8, 0x540
	v_mul_f64 v[9:10], v[17:18], s[4:5]
	v_mul_f64 v[15:16], v[19:20], s[4:5]
	v_and_or_b32 v5, 0x1ff, v6, v5
	v_lshrrev_b32_e32 v17, 8, v6
	v_bfe_u32 v18, v6, 20, 11
	v_and_or_b32 v11, 0x1ff, v12, v11
	v_lshrrev_b32_e32 v19, 8, v12
	v_cmp_ne_u32_e32 vcc_lo, 0, v5
	v_bfe_u32 v20, v12, 20, 11
	v_and_or_b32 v7, 0x1ff, v8, v7
	v_sub_nc_u32_e32 v21, 0x3f1, v18
	v_add_nc_u32_e32 v18, 0xfffffc10, v18
	v_cndmask_b32_e64 v5, 0, 1, vcc_lo
	v_cmp_ne_u32_e32 vcc_lo, 0, v11
	v_sub_nc_u32_e32 v24, 0x3f1, v20
	v_bfe_u32 v23, v8, 20, 11
	v_lshrrev_b32_e32 v22, 8, v8
	v_and_or_b32 v5, 0xffe, v17, v5
	v_cndmask_b32_e64 v11, 0, 1, vcc_lo
	v_cmp_ne_u32_e32 vcc_lo, 0, v7
	v_med3_i32 v17, v21, 0, 13
	v_and_or_b32 v15, 0x1ff, v16, v15
	v_lshl_or_b32 v27, v18, 12, v5
	v_and_or_b32 v11, 0xffe, v19, v11
	v_cndmask_b32_e64 v7, 0, 1, vcc_lo
	v_med3_i32 v19, v24, 0, 13
	v_cmp_ne_u32_e32 vcc_lo, 0, v5
	v_or_b32_e32 v24, 0x1000, v5
	v_or_b32_e32 v29, 0x1000, v11
	v_add_nc_u32_e32 v20, 0xfffffc10, v20
	v_sub_nc_u32_e32 v26, 0x3f1, v23
	v_cndmask_b32_e64 v5, 0, 1, vcc_lo
	v_cmp_ne_u32_e32 vcc_lo, 0, v15
	v_lshrrev_b32_e32 v30, v19, v29
	v_lshrrev_b32_e32 v31, v17, v24
	v_lshrrev_b32_e32 v21, 8, v16
	v_bfe_u32 v25, v16, 20, 11
	v_cndmask_b32_e64 v15, 0, 1, vcc_lo
	v_cmp_ne_u32_e32 vcc_lo, 0, v11
	v_lshlrev_b32_e32 v19, v19, v30
	v_and_or_b32 v7, 0xffe, v22, v7
	v_med3_i32 v22, v26, 0, 13
	v_lshl_or_b32 v26, v20, 12, v11
	v_cndmask_b32_e64 v11, 0, 1, vcc_lo
	v_lshlrev_b32_e32 v17, v17, v31
	v_cmp_ne_u32_e32 vcc_lo, v19, v29
	v_sub_nc_u32_e32 v28, 0x3f1, v25
	v_and_or_b32 v15, 0xffe, v21, v15
	v_add_nc_u32_e32 v25, 0xfffffc10, v25
	v_lshl_or_b32 v11, v11, 9, 0x7c00
	v_cndmask_b32_e64 v19, 0, 1, vcc_lo
	v_cmp_ne_u32_e32 vcc_lo, v17, v24
	v_med3_i32 v21, v28, 0, 13
	v_or_b32_e32 v24, 0x1000, v15
	v_or_b32_e32 v28, 0x1000, v7
	;; [unrolled: 1-line block ×3, first 2 shown]
	v_cndmask_b32_e64 v17, 0, 1, vcc_lo
	v_cmp_gt_i32_e32 vcc_lo, 1, v20
	v_lshrrev_b32_e32 v30, v21, v24
	v_lshrrev_b32_e32 v29, v22, v28
	v_lshl_or_b32 v5, v5, 9, 0x7c00
	v_or_b32_e32 v17, v31, v17
	v_cndmask_b32_e32 v19, v26, v19, vcc_lo
	v_cmp_gt_i32_e32 vcc_lo, 1, v18
	v_lshlrev_b32_e32 v21, v21, v30
	v_lshl_or_b32 v26, v25, 12, v15
	v_lshlrev_b32_e32 v22, v22, v29
	v_lshrrev_b32_e32 v12, 16, v12
	v_cndmask_b32_e32 v17, v27, v17, vcc_lo
	v_and_b32_e32 v27, 7, v19
	v_cmp_ne_u32_e32 vcc_lo, v21, v24
	v_lshrrev_b32_e32 v19, 2, v19
	v_lshrrev_b32_e32 v6, 16, v6
	v_and_b32_e32 v31, 7, v17
	v_cmp_eq_u32_e64 s0, 3, v27
	v_cndmask_b32_e64 v21, 0, 1, vcc_lo
	v_cmp_lt_i32_e32 vcc_lo, 5, v27
	v_lshrrev_b32_e32 v17, 2, v17
	v_cmp_lt_i32_e64 s1, 5, v31
	v_cmp_eq_u32_e64 s2, 3, v31
	v_or_b32_e32 v21, v30, v21
	s_or_b32 vcc_lo, s0, vcc_lo
	v_add_nc_u32_e32 v23, 0xfffffc10, v23
	v_add_co_ci_u32_e32 v19, vcc_lo, 0, v19, vcc_lo
	s_or_b32 vcc_lo, s2, s1
	v_and_or_b32 v9, 0x1ff, v10, v9
	v_add_co_ci_u32_e32 v17, vcc_lo, 0, v17, vcc_lo
	v_cmp_gt_i32_e32 vcc_lo, 31, v20
	v_cmp_gt_i32_e64 s1, 1, v23
	v_lshrrev_b32_e32 v16, 16, v16
	s_mul_i32 s2, s9, 0x540
	v_cndmask_b32_e32 v19, 0x7c00, v19, vcc_lo
	v_cmp_gt_i32_e32 vcc_lo, 31, v18
	v_cndmask_b32_e32 v17, 0x7c00, v17, vcc_lo
	v_cmp_eq_u32_e32 vcc_lo, 0x40f, v20
	v_cndmask_b32_e32 v11, v19, v11, vcc_lo
	v_cmp_gt_i32_e32 vcc_lo, 1, v25
	v_and_or_b32 v11, 0x8000, v12, v11
	v_cndmask_b32_e32 v19, v26, v21, vcc_lo
	v_cmp_eq_u32_e32 vcc_lo, 0x40f, v18
	v_and_b32_e32 v18, 7, v19
	v_cndmask_b32_e32 v5, v17, v5, vcc_lo
	v_cmp_ne_u32_e32 vcc_lo, v22, v28
	v_lshl_or_b32 v17, v23, 12, v7
	v_cmp_eq_u32_e64 s0, 3, v18
	v_and_or_b32 v5, 0x8000, v6, v5
	v_cndmask_b32_e64 v12, 0, 1, vcc_lo
	v_cmp_lt_i32_e32 vcc_lo, 5, v18
	v_and_b32_e32 v6, 0xffff, v11
	v_or_b32_e32 v11, v29, v12
	v_lshrrev_b32_e32 v12, 2, v19
	s_or_b32 vcc_lo, s0, vcc_lo
	v_lshl_or_b32 v18, v5, 16, v6
	v_cvt_f64_f32_e32 v[5:6], v3
	v_cndmask_b32_e64 v3, v17, v11, s1
	v_add_co_ci_u32_e32 v17, vcc_lo, 0, v12, vcc_lo
	v_cmp_ne_u32_e32 vcc_lo, 0, v15
	v_lshlrev_b64 v[11:12], 2, v[13:14]
	v_and_b32_e32 v19, 7, v3
	v_lshrrev_b32_e32 v3, 2, v3
	v_cmp_eq_u32_e64 s1, 0x40f, v25
	v_cndmask_b32_e64 v15, 0, 1, vcc_lo
	v_cmp_gt_i32_e32 vcc_lo, 31, v25
	v_cmp_eq_u32_e64 s0, 3, v19
	v_lshl_or_b32 v14, v15, 9, 0x7c00
	v_cndmask_b32_e32 v13, 0x7c00, v17, vcc_lo
	v_cmp_lt_i32_e32 vcc_lo, 5, v19
	v_bfe_u32 v15, v10, 20, 11
	v_lshrrev_b32_e32 v17, 16, v8
	v_cndmask_b32_e64 v13, v13, v14, s1
	s_or_b32 vcc_lo, s0, vcc_lo
	v_mul_f64 v[5:6], v[5:6], s[4:5]
	v_add_co_ci_u32_e32 v3, vcc_lo, 0, v3, vcc_lo
	v_cmp_ne_u32_e32 vcc_lo, 0, v7
	v_lshrrev_b32_e32 v14, 8, v10
	v_and_or_b32 v13, 0x8000, v16, v13
	v_lshrrev_b32_e32 v16, 16, v4
	v_cndmask_b32_e64 v7, 0, 1, vcc_lo
	v_cmp_ne_u32_e32 vcc_lo, 0, v9
	v_and_b32_e32 v13, 0xffff, v13
	v_lshl_or_b32 v7, v7, 9, 0x7c00
	v_cndmask_b32_e64 v9, 0, 1, vcc_lo
	v_cmp_gt_i32_e32 vcc_lo, 31, v23
	v_and_or_b32 v9, 0xffe, v14, v9
	v_sub_nc_u32_e32 v14, 0x3f1, v15
	v_cndmask_b32_e32 v3, 0x7c00, v3, vcc_lo
	v_cmp_eq_u32_e32 vcc_lo, 0x40f, v23
	v_and_or_b32 v5, 0x1ff, v6, v5
	v_or_b32_e32 v19, 0x1000, v9
	v_med3_i32 v14, v14, 0, 13
	v_bfe_u32 v20, v6, 20, 11
	v_cndmask_b32_e32 v3, v3, v7, vcc_lo
	v_add_co_u32 v7, vcc_lo, v0, v11
	v_lshrrev_b32_e32 v11, v14, v19
	v_add_co_ci_u32_e32 v8, vcc_lo, v1, v12, vcc_lo
	v_cmp_ne_u32_e32 vcc_lo, 0, v5
	v_and_or_b32 v3, 0x8000, v17, v3
	v_lshlrev_b32_e32 v12, v14, v11
	v_mul_f16_sdwa v17, v44, v16 dst_sel:DWORD dst_unused:UNUSED_PAD src0_sel:WORD_1 src1_sel:DWORD
	v_lshrrev_b32_e32 v14, 8, v6
	v_cndmask_b32_e64 v5, 0, 1, vcc_lo
	v_add_nc_u32_e32 v15, 0xfffffc10, v15
	v_cmp_ne_u32_e32 vcc_lo, v12, v19
	v_fmac_f16_e32 v17, v44, v4
	v_lshl_or_b32 v13, v3, 16, v13
	v_and_or_b32 v5, 0xffe, v14, v5
	v_sub_nc_u32_e32 v14, 0x3f1, v20
	v_cndmask_b32_e64 v12, 0, 1, vcc_lo
	v_cvt_f32_f16_e32 v17, v17
	v_cmp_gt_i32_e32 vcc_lo, 1, v15
	v_or_b32_e32 v19, 0x1000, v5
	v_med3_i32 v14, v14, 0, 13
	v_or_b32_e32 v11, v11, v12
	v_lshl_or_b32 v12, v15, 12, v9
	v_mul_f16_sdwa v4, v44, v4 dst_sel:DWORD dst_unused:UNUSED_PAD src0_sel:WORD_1 src1_sel:DWORD
	global_store_dword v[7:8], v18, off
	v_add_nc_u32_e32 v18, 0xfffffc10, v20
	v_cndmask_b32_e32 v21, v12, v11, vcc_lo
	v_cvt_f64_f32_e32 v[11:12], v17
	v_lshrrev_b32_e32 v17, v14, v19
	v_fma_f16 v16, v44, v16, -v4
	v_and_b32_e32 v22, 7, v21
	v_lshlrev_b32_e32 v3, v14, v17
	v_lshrrev_b32_e32 v14, 2, v21
	v_cmp_lt_i32_e32 vcc_lo, 5, v22
	v_cmp_eq_u32_e64 s0, 3, v22
	v_cmp_ne_u32_e64 s1, v3, v19
	v_lshl_or_b32 v19, v18, 12, v5
	s_or_b32 vcc_lo, s0, vcc_lo
	v_cndmask_b32_e64 v3, 0, 1, s1
	v_add_co_ci_u32_e32 v14, vcc_lo, 0, v14, vcc_lo
	v_cmp_ne_u32_e32 vcc_lo, 0, v9
	s_mul_hi_u32 s0, s8, 0x540
	v_or_b32_e32 v17, v17, v3
	v_mul_f64 v[3:4], v[11:12], s[4:5]
	v_cvt_f32_f16_e32 v11, v16
	v_cndmask_b32_e64 v9, 0, 1, vcc_lo
	v_cmp_gt_i32_e32 vcc_lo, 1, v18
	s_add_i32 s2, s0, s2
	s_mul_i32 s1, s9, 0xfffffba0
	v_cvt_f64_f32_e32 v[11:12], v11
	v_lshl_or_b32 v9, v9, 9, 0x7c00
	v_cndmask_b32_e32 v16, v19, v17, vcc_lo
	v_cmp_gt_i32_e32 vcc_lo, 31, v15
	v_and_b32_e32 v17, 7, v16
	v_cndmask_b32_e32 v14, 0x7c00, v14, vcc_lo
	v_cmp_eq_u32_e32 vcc_lo, 0x40f, v15
	v_lshrrev_b32_e32 v15, 16, v10
	v_lshrrev_b32_e32 v16, 2, v16
	v_cmp_eq_u32_e64 s0, 3, v17
	v_cndmask_b32_e32 v14, v14, v9, vcc_lo
	v_cmp_lt_i32_e32 vcc_lo, 5, v17
	ds_read2_b32 v[9:10], v36 offset0:112 offset1:168
	v_and_or_b32 v3, 0x1ff, v4, v3
	v_bfe_u32 v17, v4, 20, 11
	v_and_or_b32 v14, 0x8000, v15, v14
	s_or_b32 vcc_lo, s0, vcc_lo
	s_mul_hi_u32 s0, s8, 0xfffffba0
	v_add_co_ci_u32_e32 v15, vcc_lo, 0, v16, vcc_lo
	v_cmp_ne_u32_e32 vcc_lo, 0, v5
	v_mul_f64 v[11:12], v[11:12], s[4:5]
	v_lshrrev_b32_e32 v16, 8, v4
	s_sub_i32 s6, s0, s8
	v_lshrrev_b32_e32 v4, 16, v4
	v_cndmask_b32_e64 v5, 0, 1, vcc_lo
	v_cmp_ne_u32_e32 vcc_lo, 0, v3
	s_add_i32 s6, s6, s1
	v_lshl_or_b32 v5, v5, 9, 0x7c00
	v_cndmask_b32_e64 v3, 0, 1, vcc_lo
	v_cmp_gt_i32_e32 vcc_lo, 31, v18
	s_waitcnt lgkmcnt(0)
	v_lshrrev_b32_e32 v19, 16, v9
	v_and_or_b32 v3, 0xffe, v16, v3
	v_sub_nc_u32_e32 v16, 0x3f1, v17
	v_cndmask_b32_e32 v15, 0x7c00, v15, vcc_lo
	v_cmp_eq_u32_e32 vcc_lo, 0x40f, v18
	v_mul_f16_sdwa v21, v43, v19 dst_sel:DWORD dst_unused:UNUSED_PAD src0_sel:WORD_1 src1_sel:DWORD
	v_or_b32_e32 v20, 0x1000, v3
	v_med3_i32 v16, v16, 0, 13
	v_lshrrev_b32_e32 v18, 16, v6
	v_cndmask_b32_e32 v15, v15, v5, vcc_lo
	v_add_co_u32 v5, vcc_lo, v7, s3
	v_add_co_ci_u32_e32 v6, vcc_lo, s2, v8, vcc_lo
	v_and_b32_e32 v8, 0xffff, v14
	v_lshrrev_b32_e32 v14, v16, v20
	v_and_or_b32 v11, 0x1ff, v12, v11
	v_fmac_f16_e32 v21, v43, v9
	v_and_or_b32 v7, 0x8000, v18, v15
	global_store_dword v[5:6], v13, off
	v_lshlrev_b32_e32 v15, v16, v14
	v_cmp_ne_u32_e32 vcc_lo, 0, v11
	v_cvt_f32_f16_e32 v13, v21
	v_lshl_or_b32 v18, v7, 16, v8
	v_add_nc_u32_e32 v17, 0xfffffc10, v17
	v_bfe_u32 v16, v12, 20, 11
	v_cndmask_b32_e64 v11, 0, 1, vcc_lo
	v_cmp_ne_u32_e32 vcc_lo, v15, v20
	v_cvt_f64_f32_e32 v[7:8], v13
	v_lshrrev_b32_e32 v13, 8, v12
	v_mul_f16_sdwa v9, v43, v9 dst_sel:DWORD dst_unused:UNUSED_PAD src0_sel:WORD_1 src1_sel:DWORD
	v_cndmask_b32_e64 v15, 0, 1, vcc_lo
	v_cmp_gt_i32_e32 vcc_lo, 1, v17
	v_and_or_b32 v11, 0xffe, v13, v11
	v_sub_nc_u32_e32 v13, 0x3f1, v16
	v_fma_f16 v9, v43, v19, -v9
	v_or_b32_e32 v14, v14, v15
	v_lshl_or_b32 v15, v17, 12, v3
	v_or_b32_e32 v20, 0x1000, v11
	v_med3_i32 v13, v13, 0, 13
	v_cvt_f32_f16_e32 v9, v9
	v_cndmask_b32_e32 v14, v15, v14, vcc_lo
	v_lshrrev_b32_e32 v15, v13, v20
	v_and_b32_e32 v19, 7, v14
	v_mul_f64 v[7:8], v[7:8], s[4:5]
	v_lshlrev_b32_e32 v21, v13, v15
	v_cmp_lt_i32_e32 vcc_lo, 5, v19
	v_cmp_eq_u32_e64 s0, 3, v19
	v_lshrrev_b32_e32 v19, 2, v14
	v_cvt_f64_f32_e32 v[13:14], v9
	v_cmp_ne_u32_e64 s1, v21, v20
	v_add_nc_u32_e32 v20, 0xfffffc10, v16
	s_or_b32 vcc_lo, s0, vcc_lo
	v_add_co_ci_u32_e32 v16, vcc_lo, 0, v19, vcc_lo
	v_cmp_ne_u32_e32 vcc_lo, 0, v3
	v_cndmask_b32_e64 v9, 0, 1, s1
	ds_read2_b32 v[2:3], v2 offset0:192 offset1:248
	v_cndmask_b32_e64 v19, 0, 1, vcc_lo
	v_cmp_gt_i32_e32 vcc_lo, 31, v17
	v_or_b32_e32 v9, v15, v9
	v_lshl_or_b32 v15, v20, 12, v11
	v_and_or_b32 v7, 0x1ff, v8, v7
	v_lshl_or_b32 v19, v19, 9, 0x7c00
	v_cndmask_b32_e32 v16, 0x7c00, v16, vcc_lo
	v_cmp_gt_i32_e32 vcc_lo, 1, v20
	v_mul_f64 v[13:14], v[13:14], s[4:5]
	v_cndmask_b32_e32 v9, v15, v9, vcc_lo
	v_cmp_eq_u32_e32 vcc_lo, 0x40f, v17
	v_lshrrev_b32_e32 v17, 8, v8
	s_waitcnt lgkmcnt(0)
	v_lshrrev_b32_e32 v21, 16, v2
	v_cndmask_b32_e32 v15, v16, v19, vcc_lo
	v_and_b32_e32 v16, 7, v9
	v_cmp_ne_u32_e32 vcc_lo, 0, v7
	v_lshrrev_b32_e32 v9, 2, v9
	v_bfe_u32 v19, v8, 20, 11
	v_and_or_b32 v4, 0x8000, v4, v15
	v_cmp_eq_u32_e64 s0, 3, v16
	v_cndmask_b32_e64 v7, 0, 1, vcc_lo
	v_cmp_lt_i32_e32 vcc_lo, 5, v16
	v_mul_f16_sdwa v16, v42, v21 dst_sel:DWORD dst_unused:UNUSED_PAD src0_sel:WORD_1 src1_sel:DWORD
	v_lshrrev_b32_e32 v8, 16, v8
	v_and_or_b32 v17, 0xffe, v17, v7
	s_or_b32 vcc_lo, s0, vcc_lo
	v_sub_nc_u32_e32 v7, 0x3f1, v19
	v_add_co_ci_u32_e32 v9, vcc_lo, 0, v9, vcc_lo
	v_cmp_gt_i32_e32 vcc_lo, 31, v20
	v_or_b32_e32 v22, 0x1000, v17
	v_med3_i32 v7, v7, 0, 13
	v_and_or_b32 v13, 0x1ff, v14, v13
	v_fmac_f16_e32 v16, v42, v2
	v_cndmask_b32_e32 v9, 0x7c00, v9, vcc_lo
	v_cmp_ne_u32_e32 vcc_lo, 0, v11
	v_lshrrev_b32_e32 v23, v7, v22
	v_lshrrev_b32_e32 v24, 8, v14
	v_cvt_f32_f16_e32 v15, v16
	v_bfe_u32 v25, v14, 20, 11
	v_cndmask_b32_e64 v11, 0, 1, vcc_lo
	v_cmp_ne_u32_e32 vcc_lo, 0, v13
	v_lshlrev_b32_e32 v7, v7, v23
	v_cvt_f64_f32_e32 v[15:16], v15
	v_add_nc_u32_e32 v19, 0xfffffc10, v19
	v_lshl_or_b32 v11, v11, 9, 0x7c00
	v_cndmask_b32_e64 v13, 0, 1, vcc_lo
	v_cmp_ne_u32_e32 vcc_lo, v7, v22
	v_sub_nc_u32_e32 v22, 0x3f1, v25
	v_mul_f16_sdwa v2, v42, v2 dst_sel:DWORD dst_unused:UNUSED_PAD src0_sel:WORD_1 src1_sel:DWORD
	v_cmp_eq_u32_e64 s1, 0x40f, v19
	v_and_or_b32 v13, 0xffe, v24, v13
	v_cndmask_b32_e64 v7, 0, 1, vcc_lo
	v_med3_i32 v22, v22, 0, 13
	v_cmp_eq_u32_e32 vcc_lo, 0x40f, v20
	v_fma_f16 v2, v42, v21, -v2
	v_or_b32_e32 v24, 0x1000, v13
	v_or_b32_e32 v7, v23, v7
	v_lshl_or_b32 v23, v19, 12, v17
	v_cndmask_b32_e32 v9, v9, v11, vcc_lo
	v_cmp_gt_i32_e32 vcc_lo, 1, v19
	v_lshrrev_b32_e32 v20, v22, v24
	v_lshrrev_b32_e32 v11, 16, v12
	v_cvt_f32_f16_e32 v2, v2
	v_cndmask_b32_e32 v7, v23, v7, vcc_lo
	v_lshlrev_b32_e32 v22, v22, v20
	v_and_or_b32 v9, 0x8000, v11, v9
	v_mul_f64 v[11:12], v[15:16], s[4:5]
	v_and_b32_e32 v23, 0xffff, v4
	v_and_b32_e32 v26, 7, v7
	v_cmp_ne_u32_e64 s0, v22, v24
	v_add_co_u32 v4, vcc_lo, v5, s7
	v_add_co_ci_u32_e32 v5, vcc_lo, s6, v6, vcc_lo
	v_cmp_lt_i32_e32 vcc_lo, 5, v26
	v_cndmask_b32_e64 v6, 0, 1, s0
	v_cmp_eq_u32_e64 s0, 3, v26
	v_lshrrev_b32_e32 v16, 2, v7
	v_lshl_or_b32 v15, v9, 16, v23
	v_add_nc_u32_e32 v9, 0xfffffc10, v25
	v_or_b32_e32 v20, v20, v6
	s_or_b32 vcc_lo, s0, vcc_lo
	v_cvt_f64_f32_e32 v[6:7], v2
	v_add_co_ci_u32_e32 v16, vcc_lo, 0, v16, vcc_lo
	v_lshl_or_b32 v2, v9, 12, v13
	v_cmp_gt_i32_e32 vcc_lo, 1, v9
	v_and_or_b32 v11, 0x1ff, v12, v11
	v_lshrrev_b32_e32 v21, 8, v12
	v_bfe_u32 v22, v12, 20, 11
	v_cndmask_b32_e32 v2, v2, v20, vcc_lo
	v_cmp_gt_i32_e32 vcc_lo, 31, v19
	v_lshrrev_b32_e32 v12, 16, v12
	v_and_b32_e32 v20, 7, v2
	v_cndmask_b32_e32 v16, 0x7c00, v16, vcc_lo
	v_cmp_ne_u32_e32 vcc_lo, 0, v17
	v_lshrrev_b32_e32 v2, 2, v2
	v_cmp_eq_u32_e64 s0, 3, v20
	v_cndmask_b32_e64 v17, 0, 1, vcc_lo
	v_cmp_ne_u32_e32 vcc_lo, 0, v11
	v_mul_f64 v[6:7], v[6:7], s[4:5]
	v_lshl_or_b32 v17, v17, 9, 0x7c00
	v_cndmask_b32_e64 v11, 0, 1, vcc_lo
	v_cmp_lt_i32_e32 vcc_lo, 5, v20
	v_sub_nc_u32_e32 v20, 0x3f1, v22
	v_cndmask_b32_e64 v16, v16, v17, s1
	v_and_or_b32 v11, 0xffe, v21, v11
	s_or_b32 vcc_lo, s0, vcc_lo
	v_med3_i32 v19, v20, 0, 13
	v_add_co_ci_u32_e32 v2, vcc_lo, 0, v2, vcc_lo
	v_or_b32_e32 v17, 0x1000, v11
	v_cmp_ne_u32_e32 vcc_lo, 0, v13
	v_and_or_b32 v16, 0x8000, v8, v16
	v_lshrrev_b32_e32 v21, 16, v14
	v_lshrrev_b32_e32 v20, v19, v17
	v_cndmask_b32_e64 v13, 0, 1, vcc_lo
	v_cmp_gt_i32_e32 vcc_lo, 31, v9
	v_and_or_b32 v6, 0x1ff, v7, v6
	v_and_b32_e32 v16, 0xffff, v16
	v_lshlrev_b32_e32 v8, v19, v20
	v_lshl_or_b32 v13, v13, 9, 0x7c00
	v_cndmask_b32_e32 v2, 0x7c00, v2, vcc_lo
	v_lshrrev_b32_e32 v19, 16, v10
	v_cmp_eq_u32_e32 vcc_lo, 0x40f, v9
	v_mul_f16_sdwa v9, v41, v19 dst_sel:DWORD dst_unused:UNUSED_PAD src0_sel:WORD_1 src1_sel:DWORD
	v_cndmask_b32_e32 v2, v2, v13, vcc_lo
	v_cmp_ne_u32_e32 vcc_lo, v8, v17
	v_add_nc_u32_e32 v17, 0xfffffc10, v22
	v_lshrrev_b32_e32 v13, 8, v7
	v_fmac_f16_e32 v9, v41, v10
	v_bfe_u32 v22, v7, 20, 11
	v_cndmask_b32_e64 v8, 0, 1, vcc_lo
	v_cmp_ne_u32_e32 vcc_lo, 0, v6
	v_lshl_or_b32 v14, v17, 12, v11
	v_cvt_f32_f16_e32 v9, v9
	v_and_or_b32 v2, 0x8000, v21, v2
	v_or_b32_e32 v8, v20, v8
	v_cndmask_b32_e64 v6, 0, 1, vcc_lo
	v_cmp_gt_i32_e32 vcc_lo, 1, v17
	v_mul_f16_sdwa v10, v41, v10 dst_sel:DWORD dst_unused:UNUSED_PAD src0_sel:WORD_1 src1_sel:DWORD
	v_lshl_or_b32 v2, v2, 16, v16
	v_and_or_b32 v6, 0xffe, v13, v6
	v_sub_nc_u32_e32 v13, 0x3f1, v22
	v_cndmask_b32_e32 v20, v14, v8, vcc_lo
	v_cvt_f64_f32_e32 v[8:9], v9
	v_or_b32_e32 v23, 0x1000, v6
	v_med3_i32 v24, v13, 0, 13
	v_add_co_u32 v13, vcc_lo, v4, s3
	v_add_co_ci_u32_e32 v14, vcc_lo, s2, v5, vcc_lo
	v_lshrrev_b32_e32 v21, v24, v23
	v_and_b32_e32 v25, 7, v20
	global_store_dword v[4:5], v18, off
	global_store_dword v[13:14], v15, off
	v_lshrrev_b32_e32 v15, 2, v20
	v_add_nc_u32_e32 v18, 0xfffffc10, v22
	v_lshlrev_b32_e32 v4, v24, v21
	v_cmp_lt_i32_e32 vcc_lo, 5, v25
	v_cmp_eq_u32_e64 s0, 3, v25
	v_lshrrev_b32_e32 v20, 16, v7
	v_cmp_ne_u32_e64 s1, v4, v23
	s_or_b32 vcc_lo, s0, vcc_lo
	v_mul_f64 v[4:5], v[8:9], s[4:5]
	v_add_co_ci_u32_e32 v15, vcc_lo, 0, v15, vcc_lo
	v_cndmask_b32_e64 v16, 0, 1, s1
	v_fma_f16 v8, v41, v19, -v10
	v_cmp_ne_u32_e32 vcc_lo, 0, v11
	v_lshl_or_b32 v10, v18, 12, v6
	v_or_b32_e32 v9, v21, v16
	v_cvt_f32_f16_e32 v8, v8
	v_cndmask_b32_e64 v16, 0, 1, vcc_lo
	v_cmp_gt_i32_e32 vcc_lo, 1, v18
	v_cndmask_b32_e32 v19, v10, v9, vcc_lo
	v_cvt_f64_f32_e32 v[8:9], v8
	v_add_co_u32 v10, vcc_lo, v13, s7
	v_add_co_ci_u32_e32 v11, vcc_lo, s6, v14, vcc_lo
	v_cmp_gt_i32_e32 vcc_lo, 31, v17
	v_lshl_or_b32 v14, v16, 9, 0x7c00
	global_store_dword v[10:11], v2, off
	v_and_or_b32 v2, 0x1ff, v5, v4
	v_cndmask_b32_e32 v13, 0x7c00, v15, vcc_lo
	v_and_b32_e32 v15, 7, v19
	v_cmp_eq_u32_e32 vcc_lo, 0x40f, v17
	v_cmp_ne_u32_e64 s1, 0, v2
	v_cmp_eq_u32_e64 s0, 3, v15
	v_cndmask_b32_e32 v4, v13, v14, vcc_lo
	v_cmp_lt_i32_e32 vcc_lo, 5, v15
	v_cndmask_b32_e64 v2, 0, 1, s1
	v_lshrrev_b32_e32 v14, 8, v5
	v_bfe_u32 v15, v5, 20, 11
	v_mul_f64 v[8:9], v[8:9], s[4:5]
	v_lshrrev_b32_e32 v13, 2, v19
	s_or_b32 vcc_lo, s0, vcc_lo
	v_and_or_b32 v16, 0xffe, v14, v2
	v_sub_nc_u32_e32 v2, 0x3f1, v15
	v_and_or_b32 v4, 0x8000, v12, v4
	v_add_co_ci_u32_e32 v13, vcc_lo, 0, v13, vcc_lo
	v_cmp_ne_u32_e32 vcc_lo, 0, v6
	v_or_b32_e32 v14, 0x1000, v16
	v_med3_i32 v2, v2, 0, 13
	v_lshrrev_b32_e32 v19, 16, v3
	v_add_nc_u32_e32 v15, 0xfffffc10, v15
	v_cndmask_b32_e64 v6, 0, 1, vcc_lo
	v_cmp_gt_i32_e32 vcc_lo, 31, v18
	v_lshrrev_b32_e32 v17, v2, v14
	v_and_b32_e32 v4, 0xffff, v4
	v_lshl_or_b32 v6, v6, 9, 0x7c00
	v_cndmask_b32_e32 v13, 0x7c00, v13, vcc_lo
	v_cmp_eq_u32_e32 vcc_lo, 0x40f, v18
	v_lshlrev_b32_e32 v2, v2, v17
	v_and_or_b32 v8, 0x1ff, v9, v8
	v_bfe_u32 v21, v9, 20, 11
	v_cndmask_b32_e32 v18, v13, v6, vcc_lo
	v_cmp_ne_u32_e32 vcc_lo, v2, v14
	v_mad_u64_u32 v[12:13], null, s8, v39, 0
	v_mul_f16_sdwa v6, v40, v19 dst_sel:DWORD dst_unused:UNUSED_PAD src0_sel:WORD_1 src1_sel:DWORD
	v_lshl_or_b32 v14, v15, 12, v16
	v_cndmask_b32_e64 v7, 0, 1, vcc_lo
	v_cmp_ne_u32_e32 vcc_lo, 0, v8
	v_and_or_b32 v18, 0x8000, v20, v18
	v_fmac_f16_e32 v6, v40, v3
	v_mov_b32_e32 v2, v13
	v_or_b32_e32 v13, v17, v7
	v_cndmask_b32_e64 v8, 0, 1, vcc_lo
	v_lshrrev_b32_e32 v17, 8, v9
	v_cmp_gt_i32_e32 vcc_lo, 1, v15
	v_cvt_f32_f16_e32 v6, v6
	v_lshl_or_b32 v18, v18, 16, v4
	v_lshrrev_b32_e32 v9, 16, v9
	v_and_or_b32 v8, 0xffe, v17, v8
	v_sub_nc_u32_e32 v17, 0x3f1, v21
	v_cndmask_b32_e32 v22, v14, v13, vcc_lo
	v_mad_u64_u32 v[13:14], null, s9, v39, v[2:3]
	v_or_b32_e32 v14, 0x1000, v8
	v_med3_i32 v17, v17, 0, 13
	v_and_b32_e32 v2, 7, v22
	v_cvt_f64_f32_e32 v[6:7], v6
	v_mul_f16_sdwa v3, v40, v3 dst_sel:DWORD dst_unused:UNUSED_PAD src0_sel:WORD_1 src1_sel:DWORD
	v_lshrrev_b32_e32 v20, v17, v14
	v_cmp_lt_i32_e32 vcc_lo, 5, v2
	v_cmp_eq_u32_e64 s0, 3, v2
	v_lshrrev_b32_e32 v2, 2, v22
	v_fma_f16 v19, v40, v19, -v3
	v_lshlrev_b32_e32 v4, v17, v20
	s_or_b32 vcc_lo, s0, vcc_lo
	v_add_co_ci_u32_e32 v2, vcc_lo, 0, v2, vcc_lo
	v_cmp_ne_u32_e32 vcc_lo, v4, v14
	v_add_nc_u32_e32 v14, 0xfffffc10, v21
	v_cndmask_b32_e64 v4, 0, 1, vcc_lo
	v_cmp_ne_u32_e32 vcc_lo, 0, v16
	v_lshl_or_b32 v17, v14, 12, v8
	v_mul_f64 v[6:7], v[6:7], s[4:5]
	v_or_b32_e32 v4, v20, v4
	v_cndmask_b32_e64 v16, 0, 1, vcc_lo
	v_cmp_gt_i32_e32 vcc_lo, 31, v15
	v_lshl_or_b32 v16, v16, 9, 0x7c00
	v_cndmask_b32_e32 v20, 0x7c00, v2, vcc_lo
	v_cmp_gt_i32_e32 vcc_lo, 1, v14
	v_lshlrev_b64 v[2:3], 2, v[12:13]
	v_add_nc_u32_e32 v12, 0x200, v36
	v_cndmask_b32_e32 v17, v17, v4, vcc_lo
	v_cvt_f32_f16_e32 v4, v19
	v_lshrrev_b32_e32 v19, 16, v5
	v_cmp_eq_u32_e32 vcc_lo, 0x40f, v15
	ds_read2_b32 v[12:13], v12 offset0:96 offset1:152
	v_cvt_f64_f32_e32 v[4:5], v4
	v_and_or_b32 v6, 0x1ff, v7, v6
	v_cndmask_b32_e32 v15, v20, v16, vcc_lo
	v_and_b32_e32 v16, 7, v17
	v_bfe_u32 v20, v7, 20, 11
	v_cmp_ne_u32_e64 s1, 0, v6
	v_and_or_b32 v15, 0x8000, v19, v15
	v_cmp_lt_i32_e32 vcc_lo, 5, v16
	v_cmp_eq_u32_e64 s0, 3, v16
	v_lshrrev_b32_e32 v16, 2, v17
	v_cndmask_b32_e64 v6, 0, 1, s1
	v_lshrrev_b32_e32 v17, 8, v7
	s_or_b32 vcc_lo, s0, vcc_lo
	v_add_co_ci_u32_e32 v16, vcc_lo, 0, v16, vcc_lo
	v_cmp_ne_u32_e32 vcc_lo, 0, v8
	v_and_or_b32 v6, 0xffe, v17, v6
	v_sub_nc_u32_e32 v17, 0x3f1, v20
	s_waitcnt lgkmcnt(0)
	v_lshrrev_b32_e32 v22, 16, v12
	v_mul_f64 v[4:5], v[4:5], s[4:5]
	v_cndmask_b32_e64 v8, 0, 1, vcc_lo
	v_cmp_gt_i32_e32 vcc_lo, 31, v14
	v_or_b32_e32 v21, 0x1000, v6
	v_med3_i32 v17, v17, 0, 13
	v_lshl_or_b32 v8, v8, 9, 0x7c00
	v_cndmask_b32_e32 v16, 0x7c00, v16, vcc_lo
	v_cmp_eq_u32_e32 vcc_lo, 0x40f, v14
	v_lshrrev_b32_e32 v14, v17, v21
	v_cndmask_b32_e32 v8, v16, v8, vcc_lo
	v_mul_f16_sdwa v16, v38, v22 dst_sel:DWORD dst_unused:UNUSED_PAD src0_sel:WORD_1 src1_sel:DWORD
	v_add_co_u32 v0, vcc_lo, v0, v2
	v_add_co_ci_u32_e32 v1, vcc_lo, v1, v3, vcc_lo
	v_and_or_b32 v19, 0x8000, v9, v8
	v_lshlrev_b32_e32 v8, v17, v14
	v_fmac_f16_e32 v16, v38, v12
	v_and_or_b32 v4, 0x1ff, v5, v4
	v_mad_u64_u32 v[2:3], null, 0xe0, s8, v[10:11]
	v_cmp_ne_u32_e32 vcc_lo, v8, v21
	v_cvt_f32_f16_e32 v9, v16
	v_and_b32_e32 v10, 0xffff, v15
	v_add_nc_u32_e32 v15, 0xfffffc10, v20
	v_lshrrev_b32_e32 v17, 8, v5
	v_cndmask_b32_e64 v11, 0, 1, vcc_lo
	v_cmp_ne_u32_e32 vcc_lo, 0, v4
	v_cvt_f64_f32_e32 v[8:9], v9
	v_bfe_u32 v20, v5, 20, 11
	v_mad_u64_u32 v[3:4], null, 0xe0, s9, v[3:4]
	v_or_b32_e32 v11, v14, v11
	v_lshl_or_b32 v14, v15, 12, v6
	v_cndmask_b32_e64 v16, 0, 1, vcc_lo
	v_cmp_gt_i32_e32 vcc_lo, 1, v15
	global_store_dword v[0:1], v18, off
	v_lshl_or_b32 v10, v19, 16, v10
	v_lshrrev_b32_e32 v5, 16, v5
	v_cndmask_b32_e32 v4, v14, v11, vcc_lo
	v_and_or_b32 v14, 0xffe, v17, v16
	v_sub_nc_u32_e32 v11, 0x3f1, v20
	global_store_dword v[2:3], v10, off
	v_add_co_u32 v2, s1, v2, s3
	v_or_b32_e32 v17, 0x1000, v14
	v_med3_i32 v11, v11, 0, 13
	v_and_b32_e32 v16, 7, v4
	v_lshrrev_b32_e32 v4, 2, v4
	v_mul_f64 v[0:1], v[8:9], s[4:5]
	v_mul_f16_sdwa v8, v38, v12 dst_sel:DWORD dst_unused:UNUSED_PAD src0_sel:WORD_1 src1_sel:DWORD
	v_lshrrev_b32_e32 v18, v11, v17
	v_cmp_lt_i32_e32 vcc_lo, 5, v16
	v_cmp_eq_u32_e64 s0, 3, v16
	v_add_nc_u32_e32 v16, 0xfffffc10, v20
	v_fma_f16 v8, v38, v22, -v8
	v_lshlrev_b32_e32 v9, v11, v18
	v_add_co_ci_u32_e64 v3, s1, s2, v3, s1
	s_or_b32 vcc_lo, s0, vcc_lo
	v_cvt_f32_f16_e32 v10, v8
	v_add_co_ci_u32_e32 v4, vcc_lo, 0, v4, vcc_lo
	v_cmp_ne_u32_e32 vcc_lo, v9, v17
	v_add_nc_u32_e32 v9, 0x800, v36
	v_cvt_f64_f32_e32 v[10:11], v10
	v_lshl_or_b32 v17, v16, 12, v14
	v_cndmask_b32_e64 v12, 0, 1, vcc_lo
	v_cmp_ne_u32_e32 vcc_lo, 0, v6
	ds_read2_b32 v[8:9], v9 offset0:48 offset1:104
	v_and_or_b32 v0, 0x1ff, v1, v0
	v_or_b32_e32 v12, v18, v12
	v_cndmask_b32_e64 v6, 0, 1, vcc_lo
	v_cmp_gt_i32_e32 vcc_lo, 31, v15
	v_bfe_u32 v18, v1, 20, 11
	v_lshl_or_b32 v6, v6, 9, 0x7c00
	v_cndmask_b32_e32 v4, 0x7c00, v4, vcc_lo
	v_cmp_gt_i32_e32 vcc_lo, 1, v16
	v_sub_nc_u32_e32 v19, 0x3f1, v18
	v_add_nc_u32_e32 v18, 0xfffffc10, v18
	v_cndmask_b32_e32 v12, v17, v12, vcc_lo
	v_cmp_ne_u32_e32 vcc_lo, 0, v0
	v_lshrrev_b32_e32 v17, 8, v1
	v_lshrrev_b32_e32 v1, 16, v1
	s_waitcnt lgkmcnt(0)
	v_lshrrev_b32_e32 v20, 16, v8
	v_cndmask_b32_e64 v0, 0, 1, vcc_lo
	v_cmp_eq_u32_e32 vcc_lo, 0x40f, v15
	v_and_b32_e32 v15, 7, v12
	v_lshrrev_b32_e32 v12, 2, v12
	v_and_or_b32 v0, 0xffe, v17, v0
	v_cndmask_b32_e32 v4, v4, v6, vcc_lo
	v_cmp_lt_i32_e32 vcc_lo, 5, v15
	v_cmp_eq_u32_e64 s0, 3, v15
	v_lshrrev_b32_e32 v17, 16, v7
	v_mul_f64 v[6:7], v[10:11], s[4:5]
	v_or_b32_e32 v21, 0x1000, v0
	v_med3_i32 v10, v19, 0, 13
	v_mul_f16_sdwa v11, v37, v20 dst_sel:DWORD dst_unused:UNUSED_PAD src0_sel:WORD_1 src1_sel:DWORD
	s_or_b32 vcc_lo, s0, vcc_lo
	v_and_or_b32 v4, 0x8000, v17, v4
	v_add_co_ci_u32_e32 v12, vcc_lo, 0, v12, vcc_lo
	v_lshrrev_b32_e32 v15, v10, v21
	v_cmp_ne_u32_e32 vcc_lo, 0, v14
	v_fmac_f16_e32 v11, v37, v8
	v_mul_f16_sdwa v8, v37, v8 dst_sel:DWORD dst_unused:UNUSED_PAD src0_sel:WORD_1 src1_sel:DWORD
	v_lshlrev_b32_e32 v17, v10, v15
	v_cndmask_b32_e64 v14, 0, 1, vcc_lo
	v_cmp_gt_i32_e32 vcc_lo, 31, v16
	v_cvt_f32_f16_e32 v11, v11
	v_fma_f16 v8, v37, v20, -v8
	v_lshl_or_b32 v14, v14, 9, 0x7c00
	v_cndmask_b32_e32 v12, 0x7c00, v12, vcc_lo
	v_cmp_ne_u32_e32 vcc_lo, v17, v21
	v_cvt_f64_f32_e32 v[10:11], v11
	v_and_or_b32 v6, 0x1ff, v7, v6
	v_cvt_f32_f16_e32 v8, v8
	v_cndmask_b32_e64 v17, 0, 1, vcc_lo
	v_cmp_eq_u32_e32 vcc_lo, 0x40f, v16
	v_lshrrev_b32_e32 v16, 8, v7
	v_cndmask_b32_e32 v12, v12, v14, vcc_lo
	v_cmp_ne_u32_e32 vcc_lo, 0, v6
	v_or_b32_e32 v14, v15, v17
	v_lshl_or_b32 v15, v18, 12, v0
	v_bfe_u32 v17, v7, 20, 11
	v_and_or_b32 v12, 0x8000, v5, v12
	v_cndmask_b32_e64 v6, 0, 1, vcc_lo
	v_cmp_gt_i32_e32 vcc_lo, 1, v18
	v_lshrrev_b32_e32 v7, 16, v7
	v_and_or_b32 v6, 0xffe, v16, v6
	v_cndmask_b32_e32 v14, v15, v14, vcc_lo
	v_sub_nc_u32_e32 v15, 0x3f1, v17
	v_and_b32_e32 v16, 0xffff, v4
	v_mul_f64 v[4:5], v[10:11], s[4:5]
	v_or_b32_e32 v21, 0x1000, v6
	v_and_b32_e32 v19, 7, v14
	v_med3_i32 v10, v15, 0, 13
	v_lshl_or_b32 v15, v12, 16, v16
	v_lshrrev_b32_e32 v11, 2, v14
	v_cmp_lt_i32_e32 vcc_lo, 5, v19
	v_lshrrev_b32_e32 v12, v10, v21
	v_cmp_eq_u32_e64 s0, 3, v19
	v_lshlrev_b32_e32 v10, v10, v12
	s_or_b32 vcc_lo, s0, vcc_lo
	v_add_co_ci_u32_e32 v14, vcc_lo, 0, v11, vcc_lo
	v_cmp_ne_u32_e32 vcc_lo, v10, v21
	v_cvt_f64_f32_e32 v[10:11], v8
	v_add_nc_u32_e32 v8, 0xfffffc10, v17
	v_and_or_b32 v4, 0x1ff, v5, v4
	v_cndmask_b32_e64 v16, 0, 1, vcc_lo
	v_cmp_gt_i32_e32 vcc_lo, 31, v18
	v_lshrrev_b32_e32 v17, 8, v5
	v_bfe_u32 v19, v5, 20, 11
	v_or_b32_e32 v12, v12, v16
	v_cndmask_b32_e32 v14, 0x7c00, v14, vcc_lo
	v_cmp_ne_u32_e32 vcc_lo, 0, v4
	v_lshl_or_b32 v16, v8, 12, v6
	v_cndmask_b32_e64 v4, 0, 1, vcc_lo
	v_cmp_ne_u32_e32 vcc_lo, 0, v0
	v_and_or_b32 v4, 0xffe, v17, v4
	v_cndmask_b32_e64 v0, 0, 1, vcc_lo
	v_cmp_gt_i32_e32 vcc_lo, 1, v8
	v_lshrrev_b32_e32 v17, 16, v13
	v_mul_f64 v[10:11], v[10:11], s[4:5]
	v_or_b32_e32 v21, 0x1000, v4
	v_lshl_or_b32 v0, v0, 9, 0x7c00
	v_cndmask_b32_e32 v12, v16, v12, vcc_lo
	v_sub_nc_u32_e32 v16, 0x3f1, v19
	v_cmp_eq_u32_e32 vcc_lo, 0x40f, v18
	v_mul_f16_sdwa v22, v35, v17 dst_sel:DWORD dst_unused:UNUSED_PAD src0_sel:WORD_1 src1_sel:DWORD
	v_add_nc_u32_e32 v19, 0xfffffc10, v19
	v_and_b32_e32 v20, 7, v12
	v_med3_i32 v16, v16, 0, 13
	v_cndmask_b32_e32 v0, v14, v0, vcc_lo
	v_fmac_f16_e32 v22, v35, v13
	v_cmp_lt_i32_e32 vcc_lo, 5, v20
	v_lshrrev_b32_e32 v14, v16, v21
	v_cmp_eq_u32_e64 s0, 3, v20
	v_and_or_b32 v18, 0x8000, v1, v0
	v_lshrrev_b32_e32 v0, 2, v12
	v_cvt_f32_f16_e32 v12, v22
	v_lshlrev_b32_e32 v1, v16, v14
	s_or_b32 vcc_lo, s0, vcc_lo
	v_add_co_ci_u32_e32 v16, vcc_lo, 0, v0, vcc_lo
	v_cmp_ne_u32_e32 vcc_lo, v1, v21
	v_cvt_f64_f32_e32 v[0:1], v12
	v_and_or_b32 v10, 0x1ff, v11, v10
	v_cndmask_b32_e64 v20, 0, 1, vcc_lo
	v_cmp_ne_u32_e32 vcc_lo, 0, v6
	v_or_b32_e32 v12, v14, v20
	v_cndmask_b32_e64 v6, 0, 1, vcc_lo
	v_cmp_gt_i32_e32 vcc_lo, 31, v8
	v_lshl_or_b32 v14, v19, 12, v4
	v_bfe_u32 v20, v11, 20, 11
	v_lshl_or_b32 v6, v6, 9, 0x7c00
	v_cndmask_b32_e32 v16, 0x7c00, v16, vcc_lo
	v_cmp_gt_i32_e32 vcc_lo, 1, v19
	v_cndmask_b32_e32 v12, v14, v12, vcc_lo
	v_cmp_ne_u32_e32 vcc_lo, 0, v10
	v_lshrrev_b32_e32 v14, 8, v11
	v_mul_f64 v[0:1], v[0:1], s[4:5]
	v_and_b32_e32 v21, 7, v12
	v_cndmask_b32_e64 v10, 0, 1, vcc_lo
	v_cmp_eq_u32_e32 vcc_lo, 0x40f, v8
	v_cmp_eq_u32_e64 s0, 3, v21
	v_and_or_b32 v8, 0xffe, v14, v10
	v_cndmask_b32_e32 v6, v16, v6, vcc_lo
	v_sub_nc_u32_e32 v10, 0x3f1, v20
	v_cmp_lt_i32_e32 vcc_lo, 5, v21
	v_or_b32_e32 v14, 0x1000, v8
	v_and_or_b32 v6, 0x8000, v7, v6
	v_lshrrev_b32_e32 v7, 2, v12
	v_med3_i32 v10, v10, 0, 13
	s_or_b32 vcc_lo, s0, vcc_lo
	v_and_b32_e32 v12, 0xffff, v18
	v_add_co_ci_u32_e32 v7, vcc_lo, 0, v7, vcc_lo
	v_lshrrev_b32_e32 v16, v10, v14
	v_cmp_ne_u32_e32 vcc_lo, 0, v4
	v_lshl_or_b32 v18, v6, 16, v12
	v_and_or_b32 v0, 0x1ff, v1, v0
	v_lshlrev_b32_e32 v6, v10, v16
	v_cndmask_b32_e64 v4, 0, 1, vcc_lo
	v_cmp_gt_i32_e32 vcc_lo, 31, v19
	v_mul_f16_sdwa v10, v35, v13 dst_sel:DWORD dst_unused:UNUSED_PAD src0_sel:WORD_1 src1_sel:DWORD
	v_lshl_or_b32 v4, v4, 9, 0x7c00
	v_cndmask_b32_e32 v7, 0x7c00, v7, vcc_lo
	v_cmp_ne_u32_e32 vcc_lo, v6, v14
	v_fma_f16 v10, v35, v17, -v10
	v_add_nc_u32_e32 v14, 0xfffffc10, v20
	v_lshrrev_b32_e32 v17, 16, v5
	v_cndmask_b32_e64 v6, 0, 1, vcc_lo
	v_cmp_eq_u32_e32 vcc_lo, 0x40f, v19
	v_lshl_or_b32 v13, v14, 12, v8
	v_cndmask_b32_e32 v12, v7, v4, vcc_lo
	v_cmp_ne_u32_e32 vcc_lo, 0, v0
	v_or_b32_e32 v4, v16, v6
	v_cvt_f32_f16_e32 v6, v10
	v_lshrrev_b32_e32 v10, 8, v1
	v_bfe_u32 v16, v1, 20, 11
	v_cndmask_b32_e64 v0, 0, 1, vcc_lo
	v_cmp_gt_i32_e32 vcc_lo, 1, v14
	v_cvt_f64_f32_e32 v[6:7], v6
	v_and_or_b32 v17, 0x8000, v17, v12
	v_lshrrev_b32_e32 v1, 16, v1
	v_and_or_b32 v0, 0xffe, v10, v0
	v_cndmask_b32_e32 v13, v13, v4, vcc_lo
	v_sub_nc_u32_e32 v4, 0x3f1, v16
	v_lshrrev_b32_e32 v10, 16, v9
	v_add_nc_u32_e32 v16, 0xfffffc10, v16
	v_or_b32_e32 v20, 0x1000, v0
	v_and_b32_e32 v19, 7, v13
	v_med3_i32 v21, v4, 0, 13
	v_mul_f16_sdwa v22, v34, v10 dst_sel:DWORD dst_unused:UNUSED_PAD src0_sel:WORD_1 src1_sel:DWORD
	v_add_co_u32 v4, vcc_lo, v2, s7
	v_add_co_ci_u32_e32 v5, vcc_lo, s6, v3, vcc_lo
	v_lshrrev_b32_e32 v23, v21, v20
	v_cmp_lt_i32_e32 vcc_lo, 5, v19
	v_cmp_eq_u32_e64 s0, 3, v19
	v_fmac_f16_e32 v22, v34, v9
	v_lshrrev_b32_e32 v12, 2, v13
	v_lshlrev_b32_e32 v19, v21, v23
	v_mul_f64 v[6:7], v[6:7], s[4:5]
	s_or_b32 vcc_lo, s0, vcc_lo
	v_cvt_f32_f16_e32 v13, v22
	v_add_co_ci_u32_e32 v21, vcc_lo, 0, v12, vcc_lo
	v_cmp_ne_u32_e32 vcc_lo, v19, v20
	v_mul_f16_sdwa v9, v34, v9 dst_sel:DWORD dst_unused:UNUSED_PAD src0_sel:WORD_1 src1_sel:DWORD
	v_cvt_f64_f32_e32 v[12:13], v13
	v_lshl_or_b32 v20, v16, 12, v0
	v_and_b32_e32 v17, 0xffff, v17
	v_cndmask_b32_e64 v19, 0, 1, vcc_lo
	v_cmp_ne_u32_e32 vcc_lo, 0, v8
	v_fma_f16 v9, v34, v10, -v9
	v_or_b32_e32 v19, v23, v19
	v_cndmask_b32_e64 v8, 0, 1, vcc_lo
	v_cmp_gt_i32_e32 vcc_lo, 31, v14
	v_cvt_f32_f16_e32 v9, v9
	v_lshl_or_b32 v8, v8, 9, 0x7c00
	v_cndmask_b32_e32 v10, 0x7c00, v21, vcc_lo
	v_cmp_gt_i32_e32 vcc_lo, 1, v16
	v_and_or_b32 v6, 0x1ff, v7, v6
	v_cndmask_b32_e32 v19, v20, v19, vcc_lo
	v_cmp_eq_u32_e32 vcc_lo, 0x40f, v14
	v_lshrrev_b32_e32 v20, 16, v11
	v_and_b32_e32 v21, 7, v19
	v_cndmask_b32_e32 v14, v10, v8, vcc_lo
	v_mul_f64 v[10:11], v[12:13], s[4:5]
	v_cvt_f64_f32_e32 v[8:9], v9
	v_cmp_ne_u32_e32 vcc_lo, 0, v6
	v_lshrrev_b32_e32 v12, 8, v7
	v_and_or_b32 v14, 0x8000, v20, v14
	v_bfe_u32 v13, v7, 20, 11
	v_cmp_eq_u32_e64 s0, 3, v21
	v_cndmask_b32_e64 v6, 0, 1, vcc_lo
	v_cmp_lt_i32_e32 vcc_lo, 5, v21
	v_lshl_or_b32 v14, v14, 16, v17
	v_lshrrev_b32_e32 v17, 2, v19
	v_lshrrev_b32_e32 v7, 16, v7
	v_and_or_b32 v6, 0xffe, v12, v6
	v_sub_nc_u32_e32 v12, 0x3f1, v13
	s_or_b32 vcc_lo, s0, vcc_lo
	v_add_nc_u32_e32 v13, 0xfffffc10, v13
	v_add_co_ci_u32_e32 v17, vcc_lo, 0, v17, vcc_lo
	v_or_b32_e32 v19, 0x1000, v6
	v_med3_i32 v12, v12, 0, 13
	v_cmp_ne_u32_e32 vcc_lo, 0, v0
	v_and_or_b32 v10, 0x1ff, v11, v10
	v_mul_f64 v[8:9], v[8:9], s[4:5]
	v_lshrrev_b32_e32 v20, v12, v19
	v_cndmask_b32_e64 v0, 0, 1, vcc_lo
	v_cmp_gt_i32_e32 vcc_lo, 31, v16
	v_lshrrev_b32_e32 v21, 8, v11
	v_bfe_u32 v22, v11, 20, 11
	v_lshlrev_b32_e32 v12, v12, v20
	v_lshl_or_b32 v0, v0, 9, 0x7c00
	v_cndmask_b32_e32 v17, 0x7c00, v17, vcc_lo
	v_cmp_ne_u32_e32 vcc_lo, 0, v10
	v_lshrrev_b32_e32 v11, 16, v11
	v_cndmask_b32_e64 v10, 0, 1, vcc_lo
	v_cmp_ne_u32_e32 vcc_lo, v12, v19
	v_sub_nc_u32_e32 v19, 0x3f1, v22
	v_and_or_b32 v10, 0xffe, v21, v10
	v_cndmask_b32_e64 v12, 0, 1, vcc_lo
	v_cmp_eq_u32_e32 vcc_lo, 0x40f, v16
	v_lshl_or_b32 v16, v13, 12, v6
	v_med3_i32 v19, v19, 0, 13
	v_and_or_b32 v8, 0x1ff, v9, v8
	v_or_b32_e32 v12, v20, v12
	v_cndmask_b32_e32 v0, v17, v0, vcc_lo
	v_or_b32_e32 v17, 0x1000, v10
	v_cmp_gt_i32_e32 vcc_lo, 1, v13
	v_lshrrev_b32_e32 v20, 8, v9
	v_bfe_u32 v21, v9, 20, 11
	v_and_or_b32 v0, 0x8000, v1, v0
	v_lshrrev_b32_e32 v9, 16, v9
	v_cndmask_b32_e32 v12, v16, v12, vcc_lo
	v_lshrrev_b32_e32 v16, v19, v17
	v_cmp_ne_u32_e32 vcc_lo, 0, v8
	v_and_b32_e32 v23, 7, v12
	v_lshlrev_b32_e32 v19, v19, v16
	v_cndmask_b32_e64 v8, 0, 1, vcc_lo
	v_lshrrev_b32_e32 v12, 2, v12
	v_cmp_lt_i32_e32 vcc_lo, 5, v23
	v_cmp_ne_u32_e64 s0, v19, v17
	v_and_or_b32 v1, 0xffe, v20, v8
	v_sub_nc_u32_e32 v8, 0x3f1, v21
	v_add_nc_u32_e32 v20, 0xfffffc10, v22
	v_cndmask_b32_e64 v17, 0, 1, s0
	v_cmp_eq_u32_e64 s0, 3, v23
	v_or_b32_e32 v19, 0x1000, v1
	v_med3_i32 v8, v8, 0, 13
	v_lshl_or_b32 v22, v20, 12, v10
	v_or_b32_e32 v16, v16, v17
	s_or_b32 vcc_lo, s0, vcc_lo
	v_add_co_ci_u32_e32 v12, vcc_lo, 0, v12, vcc_lo
	v_lshrrev_b32_e32 v17, v8, v19
	v_cmp_gt_i32_e32 vcc_lo, 1, v20
	v_lshlrev_b32_e32 v8, v8, v17
	v_cndmask_b32_e32 v16, v22, v16, vcc_lo
	v_cmp_ne_u32_e32 vcc_lo, 0, v6
	v_cndmask_b32_e64 v6, 0, 1, vcc_lo
	v_cmp_ne_u32_e32 vcc_lo, v8, v19
	v_add_nc_u32_e32 v19, 0xfffffc10, v21
	v_and_b32_e32 v21, 7, v16
	v_lshl_or_b32 v6, v6, 9, 0x7c00
	v_cndmask_b32_e64 v8, 0, 1, vcc_lo
	v_cmp_gt_i32_e32 vcc_lo, 31, v13
	v_cmp_gt_i32_e64 s1, 1, v19
	v_cmp_eq_u32_e64 s0, 3, v21
	v_or_b32_e32 v8, v17, v8
	v_lshl_or_b32 v17, v19, 12, v1
	v_cndmask_b32_e32 v12, 0x7c00, v12, vcc_lo
	v_cmp_lt_i32_e32 vcc_lo, 5, v21
	v_cndmask_b32_e64 v8, v17, v8, s1
	v_cmp_eq_u32_e64 s1, 0x40f, v13
	s_or_b32 vcc_lo, s0, vcc_lo
	v_and_b32_e32 v13, 7, v8
	v_cndmask_b32_e64 v6, v12, v6, s1
	v_lshrrev_b32_e32 v12, 2, v16
	v_lshrrev_b32_e32 v8, 2, v8
	v_cmp_gt_i32_e64 s1, 31, v20
	v_cmp_eq_u32_e64 s0, 3, v13
	v_and_or_b32 v6, 0x8000, v7, v6
	v_add_co_ci_u32_e32 v12, vcc_lo, 0, v12, vcc_lo
	v_cmp_ne_u32_e32 vcc_lo, 0, v10
	v_and_b32_e32 v7, 0xffff, v0
	v_cndmask_b32_e64 v12, 0x7c00, v12, s1
	v_cndmask_b32_e64 v10, 0, 1, vcc_lo
	v_cmp_lt_i32_e32 vcc_lo, 5, v13
	v_lshl_or_b32 v10, v10, 9, 0x7c00
	s_or_b32 vcc_lo, s0, vcc_lo
	v_add_co_ci_u32_e32 v8, vcc_lo, 0, v8, vcc_lo
	v_cmp_ne_u32_e32 vcc_lo, 0, v1
	v_cndmask_b32_e64 v1, 0, 1, vcc_lo
	v_cmp_eq_u32_e32 vcc_lo, 0x40f, v20
	v_lshl_or_b32 v1, v1, 9, 0x7c00
	v_cndmask_b32_e32 v10, v12, v10, vcc_lo
	v_cmp_gt_i32_e32 vcc_lo, 31, v19
	v_and_or_b32 v10, 0x8000, v11, v10
	v_cndmask_b32_e32 v8, 0x7c00, v8, vcc_lo
	v_cmp_eq_u32_e32 vcc_lo, 0x40f, v19
	v_lshl_or_b32 v11, v6, 16, v7
	v_cndmask_b32_e32 v8, v8, v1, vcc_lo
	v_add_co_u32 v0, vcc_lo, v4, s3
	v_add_co_ci_u32_e32 v1, vcc_lo, s2, v5, vcc_lo
	v_and_or_b32 v8, 0x8000, v9, v8
	v_and_b32_e32 v9, 0xffff, v10
	v_add_co_u32 v6, vcc_lo, v0, s7
	v_add_co_ci_u32_e32 v7, vcc_lo, s6, v1, vcc_lo
	v_lshl_or_b32 v10, v8, 16, v9
	v_add_co_u32 v8, vcc_lo, v6, s3
	v_add_co_ci_u32_e32 v9, vcc_lo, s2, v7, vcc_lo
	global_store_dword v[2:3], v15, off
	global_store_dword v[4:5], v18, off
	;; [unrolled: 1-line block ×5, first 2 shown]
.LBB0_10:
	s_endpgm
	.section	.rodata,"a",@progbits
	.p2align	6, 0x0
	.amdhsa_kernel bluestein_single_fwd_len672_dim1_half_op_CI_CI
		.amdhsa_group_segment_fixed_size 2688
		.amdhsa_private_segment_fixed_size 0
		.amdhsa_kernarg_size 104
		.amdhsa_user_sgpr_count 6
		.amdhsa_user_sgpr_private_segment_buffer 1
		.amdhsa_user_sgpr_dispatch_ptr 0
		.amdhsa_user_sgpr_queue_ptr 0
		.amdhsa_user_sgpr_kernarg_segment_ptr 1
		.amdhsa_user_sgpr_dispatch_id 0
		.amdhsa_user_sgpr_flat_scratch_init 0
		.amdhsa_user_sgpr_private_segment_size 0
		.amdhsa_wavefront_size32 1
		.amdhsa_uses_dynamic_stack 0
		.amdhsa_system_sgpr_private_segment_wavefront_offset 0
		.amdhsa_system_sgpr_workgroup_id_x 1
		.amdhsa_system_sgpr_workgroup_id_y 0
		.amdhsa_system_sgpr_workgroup_id_z 0
		.amdhsa_system_sgpr_workgroup_info 0
		.amdhsa_system_vgpr_workitem_id 0
		.amdhsa_next_free_vgpr 129
		.amdhsa_next_free_sgpr 20
		.amdhsa_reserve_vcc 1
		.amdhsa_reserve_flat_scratch 0
		.amdhsa_float_round_mode_32 0
		.amdhsa_float_round_mode_16_64 0
		.amdhsa_float_denorm_mode_32 3
		.amdhsa_float_denorm_mode_16_64 3
		.amdhsa_dx10_clamp 1
		.amdhsa_ieee_mode 1
		.amdhsa_fp16_overflow 0
		.amdhsa_workgroup_processor_mode 1
		.amdhsa_memory_ordered 1
		.amdhsa_forward_progress 0
		.amdhsa_shared_vgpr_count 0
		.amdhsa_exception_fp_ieee_invalid_op 0
		.amdhsa_exception_fp_denorm_src 0
		.amdhsa_exception_fp_ieee_div_zero 0
		.amdhsa_exception_fp_ieee_overflow 0
		.amdhsa_exception_fp_ieee_underflow 0
		.amdhsa_exception_fp_ieee_inexact 0
		.amdhsa_exception_int_div_zero 0
	.end_amdhsa_kernel
	.text
.Lfunc_end0:
	.size	bluestein_single_fwd_len672_dim1_half_op_CI_CI, .Lfunc_end0-bluestein_single_fwd_len672_dim1_half_op_CI_CI
                                        ; -- End function
	.section	.AMDGPU.csdata,"",@progbits
; Kernel info:
; codeLenInByte = 19756
; NumSgprs: 22
; NumVgprs: 129
; ScratchSize: 0
; MemoryBound: 0
; FloatMode: 240
; IeeeMode: 1
; LDSByteSize: 2688 bytes/workgroup (compile time only)
; SGPRBlocks: 2
; VGPRBlocks: 16
; NumSGPRsForWavesPerEU: 22
; NumVGPRsForWavesPerEU: 129
; Occupancy: 7
; WaveLimiterHint : 1
; COMPUTE_PGM_RSRC2:SCRATCH_EN: 0
; COMPUTE_PGM_RSRC2:USER_SGPR: 6
; COMPUTE_PGM_RSRC2:TRAP_HANDLER: 0
; COMPUTE_PGM_RSRC2:TGID_X_EN: 1
; COMPUTE_PGM_RSRC2:TGID_Y_EN: 0
; COMPUTE_PGM_RSRC2:TGID_Z_EN: 0
; COMPUTE_PGM_RSRC2:TIDIG_COMP_CNT: 0
	.text
	.p2alignl 6, 3214868480
	.fill 48, 4, 3214868480
	.type	__hip_cuid_807a94f187e19ba,@object ; @__hip_cuid_807a94f187e19ba
	.section	.bss,"aw",@nobits
	.globl	__hip_cuid_807a94f187e19ba
__hip_cuid_807a94f187e19ba:
	.byte	0                               ; 0x0
	.size	__hip_cuid_807a94f187e19ba, 1

	.ident	"AMD clang version 19.0.0git (https://github.com/RadeonOpenCompute/llvm-project roc-6.4.0 25133 c7fe45cf4b819c5991fe208aaa96edf142730f1d)"
	.section	".note.GNU-stack","",@progbits
	.addrsig
	.addrsig_sym __hip_cuid_807a94f187e19ba
	.amdgpu_metadata
---
amdhsa.kernels:
  - .args:
      - .actual_access:  read_only
        .address_space:  global
        .offset:         0
        .size:           8
        .value_kind:     global_buffer
      - .actual_access:  read_only
        .address_space:  global
        .offset:         8
        .size:           8
        .value_kind:     global_buffer
      - .actual_access:  read_only
        .address_space:  global
        .offset:         16
        .size:           8
        .value_kind:     global_buffer
      - .actual_access:  read_only
        .address_space:  global
        .offset:         24
        .size:           8
        .value_kind:     global_buffer
      - .actual_access:  read_only
        .address_space:  global
        .offset:         32
        .size:           8
        .value_kind:     global_buffer
      - .offset:         40
        .size:           8
        .value_kind:     by_value
      - .address_space:  global
        .offset:         48
        .size:           8
        .value_kind:     global_buffer
      - .address_space:  global
        .offset:         56
        .size:           8
        .value_kind:     global_buffer
      - .address_space:  global
        .offset:         64
        .size:           8
        .value_kind:     global_buffer
      - .address_space:  global
        .offset:         72
        .size:           8
        .value_kind:     global_buffer
      - .offset:         80
        .size:           4
        .value_kind:     by_value
      - .address_space:  global
        .offset:         88
        .size:           8
        .value_kind:     global_buffer
      - .address_space:  global
        .offset:         96
        .size:           8
        .value_kind:     global_buffer
    .group_segment_fixed_size: 2688
    .kernarg_segment_align: 8
    .kernarg_segment_size: 104
    .language:       OpenCL C
    .language_version:
      - 2
      - 0
    .max_flat_workgroup_size: 56
    .name:           bluestein_single_fwd_len672_dim1_half_op_CI_CI
    .private_segment_fixed_size: 0
    .sgpr_count:     22
    .sgpr_spill_count: 0
    .symbol:         bluestein_single_fwd_len672_dim1_half_op_CI_CI.kd
    .uniform_work_group_size: 1
    .uses_dynamic_stack: false
    .vgpr_count:     129
    .vgpr_spill_count: 0
    .wavefront_size: 32
    .workgroup_processor_mode: 1
amdhsa.target:   amdgcn-amd-amdhsa--gfx1030
amdhsa.version:
  - 1
  - 2
...

	.end_amdgpu_metadata
